;; amdgpu-corpus repo=ROCm/rocFFT kind=compiled arch=gfx906 opt=O3
	.text
	.amdgcn_target "amdgcn-amd-amdhsa--gfx906"
	.amdhsa_code_object_version 6
	.protected	fft_rtc_fwd_len1890_factors_2_3_3_3_7_5_wgs_126_tpt_126_halfLds_sp_ip_CI_sbrr_dirReg ; -- Begin function fft_rtc_fwd_len1890_factors_2_3_3_3_7_5_wgs_126_tpt_126_halfLds_sp_ip_CI_sbrr_dirReg
	.globl	fft_rtc_fwd_len1890_factors_2_3_3_3_7_5_wgs_126_tpt_126_halfLds_sp_ip_CI_sbrr_dirReg
	.p2align	8
	.type	fft_rtc_fwd_len1890_factors_2_3_3_3_7_5_wgs_126_tpt_126_halfLds_sp_ip_CI_sbrr_dirReg,@function
fft_rtc_fwd_len1890_factors_2_3_3_3_7_5_wgs_126_tpt_126_halfLds_sp_ip_CI_sbrr_dirReg: ; @fft_rtc_fwd_len1890_factors_2_3_3_3_7_5_wgs_126_tpt_126_halfLds_sp_ip_CI_sbrr_dirReg
; %bb.0:
	s_load_dwordx2 s[14:15], s[4:5], 0x18
	s_load_dwordx4 s[8:11], s[4:5], 0x0
	s_load_dwordx2 s[12:13], s[4:5], 0x50
	v_mul_u32_u24_e32 v1, 0x209, v0
	v_add_u32_sdwa v5, s6, v1 dst_sel:DWORD dst_unused:UNUSED_PAD src0_sel:DWORD src1_sel:WORD_1
	s_waitcnt lgkmcnt(0)
	s_load_dwordx2 s[2:3], s[14:15], 0x0
	v_cmp_lt_u64_e64 s[0:1], s[10:11], 2
	v_mov_b32_e32 v3, 0
	v_mov_b32_e32 v1, 0
	;; [unrolled: 1-line block ×3, first 2 shown]
	s_and_b64 vcc, exec, s[0:1]
	v_mov_b32_e32 v2, 0
	s_cbranch_vccnz .LBB0_8
; %bb.1:
	s_load_dwordx2 s[0:1], s[4:5], 0x10
	s_add_u32 s6, s14, 8
	s_addc_u32 s7, s15, 0
	v_mov_b32_e32 v1, 0
	v_mov_b32_e32 v2, 0
	s_waitcnt lgkmcnt(0)
	s_add_u32 s16, s0, 8
	s_addc_u32 s17, s1, 0
	s_mov_b64 s[18:19], 1
.LBB0_2:                                ; =>This Inner Loop Header: Depth=1
	s_load_dwordx2 s[20:21], s[16:17], 0x0
                                        ; implicit-def: $vgpr7_vgpr8
	s_waitcnt lgkmcnt(0)
	v_or_b32_e32 v4, s21, v6
	v_cmp_ne_u64_e32 vcc, 0, v[3:4]
	s_and_saveexec_b64 s[0:1], vcc
	s_xor_b64 s[22:23], exec, s[0:1]
	s_cbranch_execz .LBB0_4
; %bb.3:                                ;   in Loop: Header=BB0_2 Depth=1
	v_cvt_f32_u32_e32 v4, s20
	v_cvt_f32_u32_e32 v7, s21
	s_sub_u32 s0, 0, s20
	s_subb_u32 s1, 0, s21
	v_mac_f32_e32 v4, 0x4f800000, v7
	v_rcp_f32_e32 v4, v4
	v_mul_f32_e32 v4, 0x5f7ffffc, v4
	v_mul_f32_e32 v7, 0x2f800000, v4
	v_trunc_f32_e32 v7, v7
	v_mac_f32_e32 v4, 0xcf800000, v7
	v_cvt_u32_f32_e32 v7, v7
	v_cvt_u32_f32_e32 v4, v4
	v_mul_lo_u32 v8, s0, v7
	v_mul_hi_u32 v9, s0, v4
	v_mul_lo_u32 v11, s1, v4
	v_mul_lo_u32 v10, s0, v4
	v_add_u32_e32 v8, v9, v8
	v_add_u32_e32 v8, v8, v11
	v_mul_hi_u32 v9, v4, v10
	v_mul_lo_u32 v11, v4, v8
	v_mul_hi_u32 v13, v4, v8
	v_mul_hi_u32 v12, v7, v10
	v_mul_lo_u32 v10, v7, v10
	v_mul_hi_u32 v14, v7, v8
	v_add_co_u32_e32 v9, vcc, v9, v11
	v_addc_co_u32_e32 v11, vcc, 0, v13, vcc
	v_mul_lo_u32 v8, v7, v8
	v_add_co_u32_e32 v9, vcc, v9, v10
	v_addc_co_u32_e32 v9, vcc, v11, v12, vcc
	v_addc_co_u32_e32 v10, vcc, 0, v14, vcc
	v_add_co_u32_e32 v8, vcc, v9, v8
	v_addc_co_u32_e32 v9, vcc, 0, v10, vcc
	v_add_co_u32_e32 v4, vcc, v4, v8
	v_addc_co_u32_e32 v7, vcc, v7, v9, vcc
	v_mul_lo_u32 v8, s0, v7
	v_mul_hi_u32 v9, s0, v4
	v_mul_lo_u32 v10, s1, v4
	v_mul_lo_u32 v11, s0, v4
	v_add_u32_e32 v8, v9, v8
	v_add_u32_e32 v8, v8, v10
	v_mul_lo_u32 v12, v4, v8
	v_mul_hi_u32 v13, v4, v11
	v_mul_hi_u32 v14, v4, v8
	;; [unrolled: 1-line block ×3, first 2 shown]
	v_mul_lo_u32 v11, v7, v11
	v_mul_hi_u32 v9, v7, v8
	v_add_co_u32_e32 v12, vcc, v13, v12
	v_addc_co_u32_e32 v13, vcc, 0, v14, vcc
	v_mul_lo_u32 v8, v7, v8
	v_add_co_u32_e32 v11, vcc, v12, v11
	v_addc_co_u32_e32 v10, vcc, v13, v10, vcc
	v_addc_co_u32_e32 v9, vcc, 0, v9, vcc
	v_add_co_u32_e32 v8, vcc, v10, v8
	v_addc_co_u32_e32 v9, vcc, 0, v9, vcc
	v_add_co_u32_e32 v4, vcc, v4, v8
	v_addc_co_u32_e32 v9, vcc, v7, v9, vcc
	v_mad_u64_u32 v[7:8], s[0:1], v5, v9, 0
	v_mul_hi_u32 v10, v5, v4
	v_add_co_u32_e32 v11, vcc, v10, v7
	v_addc_co_u32_e32 v12, vcc, 0, v8, vcc
	v_mad_u64_u32 v[7:8], s[0:1], v6, v4, 0
	v_mad_u64_u32 v[9:10], s[0:1], v6, v9, 0
	v_add_co_u32_e32 v4, vcc, v11, v7
	v_addc_co_u32_e32 v4, vcc, v12, v8, vcc
	v_addc_co_u32_e32 v7, vcc, 0, v10, vcc
	v_add_co_u32_e32 v4, vcc, v4, v9
	v_addc_co_u32_e32 v9, vcc, 0, v7, vcc
	v_mul_lo_u32 v10, s21, v4
	v_mul_lo_u32 v11, s20, v9
	v_mad_u64_u32 v[7:8], s[0:1], s20, v4, 0
	v_add3_u32 v8, v8, v11, v10
	v_sub_u32_e32 v10, v6, v8
	v_mov_b32_e32 v11, s21
	v_sub_co_u32_e32 v7, vcc, v5, v7
	v_subb_co_u32_e64 v10, s[0:1], v10, v11, vcc
	v_subrev_co_u32_e64 v11, s[0:1], s20, v7
	v_subbrev_co_u32_e64 v10, s[0:1], 0, v10, s[0:1]
	v_cmp_le_u32_e64 s[0:1], s21, v10
	v_cndmask_b32_e64 v12, 0, -1, s[0:1]
	v_cmp_le_u32_e64 s[0:1], s20, v11
	v_cndmask_b32_e64 v11, 0, -1, s[0:1]
	v_cmp_eq_u32_e64 s[0:1], s21, v10
	v_cndmask_b32_e64 v10, v12, v11, s[0:1]
	v_add_co_u32_e64 v11, s[0:1], 2, v4
	v_addc_co_u32_e64 v12, s[0:1], 0, v9, s[0:1]
	v_add_co_u32_e64 v13, s[0:1], 1, v4
	v_addc_co_u32_e64 v14, s[0:1], 0, v9, s[0:1]
	v_subb_co_u32_e32 v8, vcc, v6, v8, vcc
	v_cmp_ne_u32_e64 s[0:1], 0, v10
	v_cmp_le_u32_e32 vcc, s21, v8
	v_cndmask_b32_e64 v10, v14, v12, s[0:1]
	v_cndmask_b32_e64 v12, 0, -1, vcc
	v_cmp_le_u32_e32 vcc, s20, v7
	v_cndmask_b32_e64 v7, 0, -1, vcc
	v_cmp_eq_u32_e32 vcc, s21, v8
	v_cndmask_b32_e32 v7, v12, v7, vcc
	v_cmp_ne_u32_e32 vcc, 0, v7
	v_cndmask_b32_e64 v7, v13, v11, s[0:1]
	v_cndmask_b32_e32 v8, v9, v10, vcc
	v_cndmask_b32_e32 v7, v4, v7, vcc
.LBB0_4:                                ;   in Loop: Header=BB0_2 Depth=1
	s_andn2_saveexec_b64 s[0:1], s[22:23]
	s_cbranch_execz .LBB0_6
; %bb.5:                                ;   in Loop: Header=BB0_2 Depth=1
	v_cvt_f32_u32_e32 v4, s20
	s_sub_i32 s22, 0, s20
	v_rcp_iflag_f32_e32 v4, v4
	v_mul_f32_e32 v4, 0x4f7ffffe, v4
	v_cvt_u32_f32_e32 v4, v4
	v_mul_lo_u32 v7, s22, v4
	v_mul_hi_u32 v7, v4, v7
	v_add_u32_e32 v4, v4, v7
	v_mul_hi_u32 v4, v5, v4
	v_mul_lo_u32 v7, v4, s20
	v_add_u32_e32 v8, 1, v4
	v_sub_u32_e32 v7, v5, v7
	v_subrev_u32_e32 v9, s20, v7
	v_cmp_le_u32_e32 vcc, s20, v7
	v_cndmask_b32_e32 v7, v7, v9, vcc
	v_cndmask_b32_e32 v4, v4, v8, vcc
	v_add_u32_e32 v8, 1, v4
	v_cmp_le_u32_e32 vcc, s20, v7
	v_cndmask_b32_e32 v7, v4, v8, vcc
	v_mov_b32_e32 v8, v3
.LBB0_6:                                ;   in Loop: Header=BB0_2 Depth=1
	s_or_b64 exec, exec, s[0:1]
	v_mul_lo_u32 v4, v8, s20
	v_mul_lo_u32 v11, v7, s21
	v_mad_u64_u32 v[9:10], s[0:1], v7, s20, 0
	s_load_dwordx2 s[0:1], s[6:7], 0x0
	s_add_u32 s18, s18, 1
	v_add3_u32 v4, v10, v11, v4
	v_sub_co_u32_e32 v5, vcc, v5, v9
	v_subb_co_u32_e32 v4, vcc, v6, v4, vcc
	s_waitcnt lgkmcnt(0)
	v_mul_lo_u32 v4, s0, v4
	v_mul_lo_u32 v6, s1, v5
	v_mad_u64_u32 v[1:2], s[0:1], s0, v5, v[1:2]
	s_addc_u32 s19, s19, 0
	s_add_u32 s6, s6, 8
	v_add3_u32 v2, v6, v2, v4
	v_mov_b32_e32 v4, s10
	v_mov_b32_e32 v5, s11
	s_addc_u32 s7, s7, 0
	v_cmp_ge_u64_e32 vcc, s[18:19], v[4:5]
	s_add_u32 s16, s16, 8
	s_addc_u32 s17, s17, 0
	s_cbranch_vccnz .LBB0_9
; %bb.7:                                ;   in Loop: Header=BB0_2 Depth=1
	v_mov_b32_e32 v5, v7
	v_mov_b32_e32 v6, v8
	s_branch .LBB0_2
.LBB0_8:
	v_mov_b32_e32 v8, v6
	v_mov_b32_e32 v7, v5
.LBB0_9:
	s_lshl_b64 s[0:1], s[10:11], 3
	s_add_u32 s0, s14, s0
	s_addc_u32 s1, s15, s1
	s_load_dwordx2 s[6:7], s[0:1], 0x0
	s_load_dwordx2 s[10:11], s[4:5], 0x20
                                        ; implicit-def: $vgpr47
                                        ; implicit-def: $vgpr46
                                        ; implicit-def: $vgpr48
                                        ; implicit-def: $vgpr49
                                        ; implicit-def: $vgpr35
                                        ; implicit-def: $vgpr44
	s_waitcnt lgkmcnt(0)
	v_mad_u64_u32 v[1:2], s[0:1], s6, v7, v[1:2]
	s_mov_b32 s0, 0x2082083
	v_mul_lo_u32 v3, s6, v8
	v_mul_lo_u32 v4, s7, v7
	v_mul_hi_u32 v5, v0, s0
	v_cmp_gt_u64_e32 vcc, s[10:11], v[7:8]
	v_cmp_le_u64_e64 s[0:1], s[10:11], v[7:8]
	v_add3_u32 v2, v4, v2, v3
	v_mul_u32_u24_e32 v3, 0x7e, v5
	v_sub_u32_e32 v41, v0, v3
                                        ; implicit-def: $sgpr6
	s_and_saveexec_b64 s[4:5], s[0:1]
	s_xor_b64 s[0:1], exec, s[4:5]
; %bb.10:
	v_add_u32_e32 v47, 0x7e, v41
	v_add_u32_e32 v46, 0xfc, v41
	;; [unrolled: 1-line block ×6, first 2 shown]
	s_mov_b32 s6, 0
; %bb.11:
	s_or_saveexec_b64 s[4:5], s[0:1]
	v_lshlrev_b64 v[0:1], 3, v[1:2]
	v_mov_b32_e32 v12, s6
	v_mov_b32_e32 v11, s6
                                        ; implicit-def: $vgpr4
                                        ; implicit-def: $vgpr34
                                        ; implicit-def: $vgpr6
                                        ; implicit-def: $vgpr8
                                        ; implicit-def: $vgpr10
                                        ; implicit-def: $vgpr14
                                        ; implicit-def: $vgpr16
                                        ; implicit-def: $vgpr18
                                        ; implicit-def: $vgpr20
                                        ; implicit-def: $vgpr22
                                        ; implicit-def: $vgpr24
                                        ; implicit-def: $vgpr32
                                        ; implicit-def: $vgpr30
                                        ; implicit-def: $vgpr26
                                        ; implicit-def: $vgpr28
	s_xor_b64 exec, exec, s[4:5]
	s_cbranch_execz .LBB0_15
; %bb.12:
	v_mad_u64_u32 v[3:4], s[0:1], s2, v41, 0
	v_add_u32_e32 v8, 0x3b1, v41
	v_mov_b32_e32 v7, s13
	v_mov_b32_e32 v2, v4
	v_mad_u64_u32 v[4:5], s[0:1], s3, v41, v[2:3]
	v_mad_u64_u32 v[5:6], s[0:1], s2, v8, 0
	v_add_co_u32_e64 v2, s[0:1], s12, v0
	v_addc_co_u32_e64 v32, s[0:1], v7, v1, s[0:1]
	v_mad_u64_u32 v[6:7], s[0:1], s3, v8, v[6:7]
	v_add_u32_e32 v47, 0x7e, v41
	v_mad_u64_u32 v[7:8], s[0:1], s2, v47, 0
	v_lshlrev_b64 v[3:4], 3, v[3:4]
	v_add_u32_e32 v46, 0xfc, v41
	v_add_co_u32_e64 v11, s[0:1], v2, v3
	v_addc_co_u32_e64 v12, s[0:1], v32, v4, s[0:1]
	v_lshlrev_b64 v[3:4], 3, v[5:6]
	v_mov_b32_e32 v5, v8
	v_mad_u64_u32 v[5:6], s[0:1], s3, v47, v[5:6]
	v_add_u32_e32 v6, 0x42f, v41
	v_mad_u64_u32 v[9:10], s[0:1], s2, v6, 0
	v_add_co_u32_e64 v36, s[0:1], v2, v3
	v_mov_b32_e32 v8, v5
	v_mov_b32_e32 v5, v10
	v_addc_co_u32_e64 v37, s[0:1], v32, v4, s[0:1]
	v_mad_u64_u32 v[5:6], s[0:1], s3, v6, v[5:6]
	v_lshlrev_b64 v[3:4], 3, v[7:8]
	v_mad_u64_u32 v[6:7], s[0:1], s2, v46, 0
	v_add_co_u32_e64 v38, s[0:1], v2, v3
	v_mov_b32_e32 v10, v5
	v_mov_b32_e32 v5, v7
	v_addc_co_u32_e64 v39, s[0:1], v32, v4, s[0:1]
	v_lshlrev_b64 v[3:4], 3, v[9:10]
	v_mad_u64_u32 v[7:8], s[0:1], s3, v46, v[5:6]
	v_add_u32_e32 v10, 0x4ad, v41
	v_mad_u64_u32 v[8:9], s[0:1], s2, v10, 0
	v_add_co_u32_e64 v42, s[0:1], v2, v3
	v_mov_b32_e32 v5, v9
	v_addc_co_u32_e64 v43, s[0:1], v32, v4, s[0:1]
	v_lshlrev_b64 v[3:4], 3, v[6:7]
	v_mad_u64_u32 v[5:6], s[0:1], s3, v10, v[5:6]
	v_add_u32_e32 v48, 0x17a, v41
	v_mad_u64_u32 v[6:7], s[0:1], s2, v48, 0
	v_add_co_u32_e64 v50, s[0:1], v2, v3
	v_mov_b32_e32 v9, v5
	v_mov_b32_e32 v5, v7
	v_addc_co_u32_e64 v51, s[0:1], v32, v4, s[0:1]
	v_lshlrev_b64 v[3:4], 3, v[8:9]
	v_mad_u64_u32 v[7:8], s[0:1], s3, v48, v[5:6]
	v_add_u32_e32 v10, 0x52b, v41
	v_mad_u64_u32 v[8:9], s[0:1], s2, v10, 0
	v_add_co_u32_e64 v52, s[0:1], v2, v3
	v_mov_b32_e32 v5, v9
	v_addc_co_u32_e64 v53, s[0:1], v32, v4, s[0:1]
	v_lshlrev_b64 v[3:4], 3, v[6:7]
	v_mad_u64_u32 v[5:6], s[0:1], s3, v10, v[5:6]
	v_add_u32_e32 v49, 0x1f8, v41
	;; [unrolled: 15-line block ×4, first 2 shown]
	v_mad_u64_u32 v[6:7], s[0:1], s2, v44, 0
	v_add_co_u32_e64 v62, s[0:1], v2, v3
	v_mov_b32_e32 v9, v5
	v_mov_b32_e32 v5, v7
	v_addc_co_u32_e64 v63, s[0:1], v32, v4, s[0:1]
	v_lshlrev_b64 v[3:4], 3, v[8:9]
	v_mad_u64_u32 v[7:8], s[0:1], s3, v44, v[5:6]
	v_add_u32_e32 v10, 0x6a5, v41
	v_mad_u64_u32 v[8:9], s[0:1], s2, v10, 0
	v_add_co_u32_e64 v64, s[0:1], v2, v3
	v_mov_b32_e32 v5, v9
	v_addc_co_u32_e64 v65, s[0:1], v32, v4, s[0:1]
	v_lshlrev_b64 v[3:4], 3, v[6:7]
	v_mad_u64_u32 v[5:6], s[0:1], s3, v10, v[5:6]
	v_add_co_u32_e64 v66, s[0:1], v2, v3
	v_mov_b32_e32 v9, v5
	v_addc_co_u32_e64 v67, s[0:1], v32, v4, s[0:1]
	v_lshlrev_b64 v[3:4], 3, v[8:9]
                                        ; implicit-def: $vgpr31
	v_add_co_u32_e64 v68, s[0:1], v2, v3
	v_addc_co_u32_e64 v69, s[0:1], v32, v4, s[0:1]
	global_load_dwordx2 v[3:4], v[11:12], off
	global_load_dwordx2 v[33:34], v[36:37], off
	;; [unrolled: 1-line block ×14, first 2 shown]
	v_cmp_gt_u32_e64 s[0:1], 63, v41
	v_mov_b32_e32 v11, 0
	v_mov_b32_e32 v12, 0
	s_and_saveexec_b64 s[6:7], s[0:1]
	s_cbranch_execz .LBB0_14
; %bb.13:
	v_add_u32_e32 v31, 0x372, v41
	v_mad_u64_u32 v[11:12], s[0:1], s2, v31, 0
	v_add_u32_e32 v40, 0x723, v41
	v_mad_u64_u32 v[36:37], s[0:1], s2, v40, 0
	s_waitcnt vmcnt(6)
	v_mad_u64_u32 v[38:39], s[0:1], s3, v31, v[12:13]
	v_mov_b32_e32 v31, v37
	v_mov_b32_e32 v12, v38
	v_mad_u64_u32 v[37:38], s[0:1], s3, v40, v[31:32]
	v_lshlrev_b64 v[11:12], 3, v[11:12]
	v_add_co_u32_e64 v38, s[0:1], v2, v11
	v_addc_co_u32_e64 v39, s[0:1], v32, v12, s[0:1]
	v_lshlrev_b64 v[11:12], 3, v[36:37]
	v_add_co_u32_e64 v36, s[0:1], v2, v11
	v_addc_co_u32_e64 v37, s[0:1], v32, v12, s[0:1]
	global_load_dwordx2 v[11:12], v[38:39], off
	global_load_dwordx2 v[31:32], v[36:37], off
.LBB0_14:
	s_or_b64 exec, exec, s[6:7]
.LBB0_15:
	s_or_b64 exec, exec, s[4:5]
	s_waitcnt vmcnt(12)
	v_sub_f32_e32 v37, v3, v33
	v_fma_f32 v36, v3, 2.0, -v37
	s_waitcnt vmcnt(10)
	v_sub_f32_e32 v3, v5, v27
	v_fma_f32 v2, v5, 2.0, -v3
	v_lshl_add_u32 v55, v41, 3, 0
	v_lshl_add_u32 v45, v47, 3, 0
	ds_write_b64 v55, v[36:37]
	ds_write_b64 v45, v[2:3]
	s_waitcnt vmcnt(8)
	v_sub_f32_e32 v3, v7, v25
	v_fma_f32 v2, v7, 2.0, -v3
	v_lshl_add_u32 v50, v46, 3, 0
	ds_write_b64 v50, v[2:3]
	s_waitcnt vmcnt(6)
	v_sub_f32_e32 v3, v9, v13
	v_fma_f32 v2, v9, 2.0, -v3
	v_lshl_add_u32 v51, v48, 3, 0
	;; [unrolled: 5-line block ×5, first 2 shown]
	v_add_u32_e32 v42, 0x372, v41
	ds_write_b64 v7, v[2:3]
	v_cmp_gt_u32_e64 s[0:1], 63, v41
	v_lshl_add_u32 v54, v42, 3, 0
	v_sub_f32_e32 v3, v11, v31
	s_and_saveexec_b64 s[4:5], s[0:1]
	s_cbranch_execz .LBB0_17
; %bb.16:
	v_fma_f32 v2, v11, 2.0, -v3
	ds_write_b64 v54, v[2:3]
.LBB0_17:
	s_or_b64 exec, exec, s[4:5]
	v_sub_f32_e32 v57, v4, v34
	v_lshlrev_b32_e32 v2, 2, v46
	v_fma_f32 v56, v4, 2.0, -v57
	v_sub_u32_e32 v4, v50, v2
	v_lshlrev_b32_e32 v66, 2, v48
	v_lshlrev_b32_e32 v67, 2, v49
	s_waitcnt lgkmcnt(0)
	s_barrier
	v_lshlrev_b32_e32 v65, 2, v35
	v_lshlrev_b32_e32 v5, 2, v47
	v_sub_u32_e32 v9, v51, v66
	v_sub_u32_e32 v11, v52, v67
	ds_read_b32 v21, v4
	ds_read_b32 v19, v9
	;; [unrolled: 1-line block ×3, first 2 shown]
	v_lshlrev_b32_e32 v4, 2, v41
	v_sub_u32_e32 v23, v45, v5
	v_sub_u32_e32 v27, v53, v65
	;; [unrolled: 1-line block ×3, first 2 shown]
	ds_read_b32 v25, v43
	v_add_u32_e32 v15, 0x1200, v43
	v_add_u32_e32 v13, 0xa00, v43
	;; [unrolled: 1-line block ×4, first 2 shown]
	ds_read_b32 v23, v23
	ds_read_b32 v29, v27
	ds_read_b32 v27, v43 offset:7056
	ds_read2_b32 v[39:40], v15 offset0:108 offset1:234
	ds_read2_b32 v[37:38], v13 offset0:116 offset1:242
	;; [unrolled: 1-line block ×4, first 2 shown]
	s_waitcnt lgkmcnt(0)
	s_barrier
	ds_write_b64 v55, v[56:57]
	v_sub_f32_e32 v56, v6, v28
	v_fma_f32 v55, v6, 2.0, -v56
	v_sub_f32_e32 v58, v8, v26
	v_sub_f32_e32 v60, v10, v14
	;; [unrolled: 1-line block ×5, first 2 shown]
	v_fma_f32 v57, v8, 2.0, -v58
	v_fma_f32 v59, v10, 2.0, -v60
	;; [unrolled: 1-line block ×5, first 2 shown]
	ds_write_b64 v45, v[55:56]
	ds_write_b64 v50, v[57:58]
	;; [unrolled: 1-line block ×6, first 2 shown]
	v_sub_f32_e32 v7, v12, v32
	v_sub_u32_e32 v10, 0, v65
	v_sub_u32_e32 v16, 0, v5
	;; [unrolled: 1-line block ×5, first 2 shown]
	s_and_saveexec_b64 s[4:5], s[0:1]
	s_cbranch_execz .LBB0_19
; %bb.18:
	v_fma_f32 v6, v12, 2.0, -v7
	ds_write_b64 v54, v[6:7]
.LBB0_19:
	s_or_b64 exec, exec, s[4:5]
	v_and_b32_e32 v12, 1, v41
	v_lshlrev_b32_e32 v6, 4, v12
	s_waitcnt lgkmcnt(0)
	s_barrier
	global_load_dwordx4 v[54:57], v6, s[8:9]
	v_add_u32_e32 v6, v45, v16
	ds_read2_b32 v[58:59], v13 offset0:116 offset1:242
	v_add_u32_e32 v32, v50, v18
	v_add_u32_e32 v45, v51, v14
	ds_read2_b32 v[50:51], v9 offset0:112 offset1:238
	ds_read2_b32 v[30:31], v15 offset0:108 offset1:234
	;; [unrolled: 1-line block ×3, first 2 shown]
	v_add_u32_e32 v10, v53, v10
	v_add_u32_e32 v8, v52, v8
	ds_read_b32 v14, v43
	ds_read_b32 v16, v43 offset:7056
	ds_read_b32 v18, v10
	ds_read_b32 v20, v6
	;; [unrolled: 1-line block ×5, first 2 shown]
	s_waitcnt vmcnt(0) lgkmcnt(0)
	s_barrier
	s_movk_i32 s0, 0xab
	v_mul_f32_e32 v52, v39, v57
	v_mul_f32_e32 v63, v58, v55
	;; [unrolled: 1-line block ×13, first 2 shown]
	v_fmac_f32_e32 v52, v30, v56
	v_fmac_f32_e32 v55, v18, v54
	v_mul_f32_e32 v62, v40, v57
	v_fma_f32 v28, v39, v56, -v28
	v_fma_f32 v39, v40, v56, -v53
	v_add_f32_e32 v40, v55, v52
	v_mul_f32_e32 v67, v60, v57
	v_mul_f32_e32 v68, v35, v57
	;; [unrolled: 1-line block ×6, first 2 shown]
	v_fmac_f32_e32 v62, v31, v56
	v_fma_f32 v31, v38, v54, -v65
	v_fma_f32 v29, v29, v54, -v75
	v_add_f32_e32 v38, v14, v55
	v_fmac_f32_e32 v14, -0.5, v40
	v_fma_f32 v30, v37, v54, -v63
	v_fmac_f32_e32 v64, v58, v54
	v_fma_f32 v18, v27, v56, -v76
	v_fmac_f32_e32 v57, v16, v56
	v_add_f32_e32 v16, v25, v29
	v_add_f32_e32 v27, v29, v28
	v_sub_f32_e32 v37, v55, v52
	v_sub_f32_e32 v29, v29, v28
	v_mov_b32_e32 v55, v14
	v_fmac_f32_e32 v25, -0.5, v27
	v_fmac_f32_e32 v14, 0x3f5db3d7, v29
	v_fmac_f32_e32 v55, 0xbf5db3d7, v29
	v_add_f32_e32 v29, v64, v62
	v_fmac_f32_e32 v66, v59, v54
	v_fma_f32 v35, v35, v56, -v67
	v_fma_f32 v33, v33, v54, -v71
	;; [unrolled: 1-line block ×3, first 2 shown]
	v_fmac_f32_e32 v72, v50, v54
	v_fmac_f32_e32 v74, v51, v54
	v_add_f32_e32 v54, v20, v64
	v_add_f32_e32 v27, v38, v52
	v_mov_b32_e32 v38, v25
	v_fmac_f32_e32 v20, -0.5, v29
	v_add_f32_e32 v50, v23, v30
	v_add_f32_e32 v51, v30, v39
	v_fmac_f32_e32 v25, 0xbf5db3d7, v37
	v_fmac_f32_e32 v38, 0x3f5db3d7, v37
	v_sub_f32_e32 v29, v30, v39
	v_mov_b32_e32 v30, v20
	v_add_f32_e32 v37, v31, v35
	v_fmac_f32_e32 v68, v60, v56
	v_fmac_f32_e32 v30, 0xbf5db3d7, v29
	;; [unrolled: 1-line block ×3, first 2 shown]
	v_add_f32_e32 v29, v21, v31
	v_fmac_f32_e32 v21, -0.5, v37
	v_add_f32_e32 v16, v16, v28
	v_add_f32_e32 v28, v50, v39
	v_sub_f32_e32 v37, v66, v68
	v_mov_b32_e32 v39, v21
	v_fmac_f32_e32 v39, 0x3f5db3d7, v37
	v_fmac_f32_e32 v21, 0xbf5db3d7, v37
	v_add_f32_e32 v37, v22, v66
	v_fma_f32 v36, v36, v56, -v69
	v_fmac_f32_e32 v70, v61, v56
	v_add_f32_e32 v56, v37, v68
	v_add_f32_e32 v37, v66, v68
	v_fmac_f32_e32 v22, -0.5, v37
	v_add_f32_e32 v29, v29, v35
	v_sub_f32_e32 v31, v31, v35
	v_mov_b32_e32 v35, v22
	v_add_f32_e32 v37, v33, v36
	v_fmac_f32_e32 v35, 0xbf5db3d7, v31
	v_fmac_f32_e32 v22, 0x3f5db3d7, v31
	v_add_f32_e32 v31, v19, v33
	v_fmac_f32_e32 v19, -0.5, v37
	v_sub_f32_e32 v37, v72, v70
	v_mov_b32_e32 v50, v19
	v_fmac_f32_e32 v50, 0x3f5db3d7, v37
	v_fmac_f32_e32 v19, 0xbf5db3d7, v37
	v_add_f32_e32 v37, v24, v72
	v_add_f32_e32 v58, v37, v70
	;; [unrolled: 1-line block ×3, first 2 shown]
	v_fmac_f32_e32 v24, -0.5, v37
	v_add_f32_e32 v31, v31, v36
	v_sub_f32_e32 v33, v33, v36
	v_mov_b32_e32 v36, v24
	v_add_f32_e32 v37, v34, v18
	v_fmac_f32_e32 v36, 0xbf5db3d7, v33
	v_fmac_f32_e32 v24, 0x3f5db3d7, v33
	v_add_f32_e32 v33, v17, v34
	v_fmac_f32_e32 v17, -0.5, v37
	v_fmac_f32_e32 v23, -0.5, v51
	v_sub_f32_e32 v37, v74, v57
	v_mov_b32_e32 v51, v17
	v_fmac_f32_e32 v51, 0x3f5db3d7, v37
	v_fmac_f32_e32 v17, 0xbf5db3d7, v37
	v_add_f32_e32 v37, v26, v74
	v_add_f32_e32 v59, v37, v57
	;; [unrolled: 1-line block ×3, first 2 shown]
	v_fmac_f32_e32 v26, -0.5, v37
	v_add_f32_e32 v33, v33, v18
	v_sub_f32_e32 v18, v34, v18
	v_mov_b32_e32 v34, v26
	v_fmac_f32_e32 v34, 0xbf5db3d7, v18
	v_fmac_f32_e32 v26, 0x3f5db3d7, v18
	v_lshrrev_b32_e32 v18, 1, v41
	v_mul_u32_u24_e32 v18, 6, v18
	v_or_b32_e32 v18, v18, v12
	v_lshrrev_b32_e32 v37, 1, v47
	v_mul_lo_u32 v37, v37, 6
	v_lshl_add_u32 v18, v18, 2, 0
	ds_write2_b32 v18, v16, v38 offset1:2
	ds_write_b32 v18, v25 offset:16
	v_lshrrev_b32_e32 v25, 1, v46
	v_mul_lo_u32 v25, v25, 6
	v_sub_f32_e32 v53, v64, v62
	v_mov_b32_e32 v40, v23
	v_or_b32_e32 v16, v37, v12
	v_fmac_f32_e32 v23, 0xbf5db3d7, v53
	v_fmac_f32_e32 v40, 0x3f5db3d7, v53
	v_lshl_add_u32 v16, v16, 2, 0
	ds_write2_b32 v16, v28, v40 offset1:2
	ds_write_b32 v16, v23 offset:16
	v_or_b32_e32 v23, v25, v12
	v_lshrrev_b32_e32 v25, 1, v48
	v_mul_lo_u32 v25, v25, 6
	v_lshl_add_u32 v23, v23, 2, 0
	ds_write2_b32 v23, v29, v39 offset1:2
	ds_write_b32 v23, v21 offset:16
	v_add_f32_e32 v54, v54, v62
	v_or_b32_e32 v21, v25, v12
	v_lshrrev_b32_e32 v25, 1, v49
	v_mul_lo_u32 v25, v25, 6
	v_lshl_add_u32 v21, v21, 2, 0
	ds_write2_b32 v21, v31, v50 offset1:2
	ds_write_b32 v21, v19 offset:16
	v_or_b32_e32 v12, v25, v12
	v_lshl_add_u32 v12, v12, 2, 0
	ds_write2_b32 v12, v33, v51 offset1:2
	ds_write_b32 v12, v17 offset:16
	s_waitcnt lgkmcnt(0)
	s_barrier
	ds_read_b32 v57, v43
	ds_read2_b32 v[37:38], v15 offset0:108 offset1:234
	ds_read2_b32 v[39:40], v13 offset0:116 offset1:242
	;; [unrolled: 1-line block ×4, first 2 shown]
	ds_read_b32 v60, v32
	ds_read_b32 v61, v45
	;; [unrolled: 1-line block ×5, first 2 shown]
	ds_read_b32 v65, v43 offset:7056
	s_waitcnt lgkmcnt(0)
	s_barrier
	ds_write2_b32 v18, v27, v55 offset1:2
	ds_write_b32 v18, v14 offset:16
	ds_write2_b32 v16, v54, v30 offset1:2
	ds_write_b32 v16, v20 offset:16
	;; [unrolled: 2-line block ×5, first 2 shown]
	v_mul_lo_u16_sdwa v12, v41, s0 dst_sel:DWORD dst_unused:UNUSED_PAD src0_sel:BYTE_0 src1_sel:DWORD
	v_lshrrev_b16_e32 v12, 10, v12
	v_mul_lo_u16_e32 v14, 6, v12
	v_sub_u16_e32 v14, v41, v14
	v_mov_b32_e32 v56, 4
	v_lshlrev_b32_sdwa v16, v56, v14 dst_sel:DWORD dst_unused:UNUSED_PAD src0_sel:DWORD src1_sel:BYTE_0
	s_waitcnt lgkmcnt(0)
	s_barrier
	global_load_dwordx4 v[16:19], v16, s[8:9] offset:32
	v_mul_lo_u16_sdwa v20, v47, s0 dst_sel:DWORD dst_unused:UNUSED_PAD src0_sel:BYTE_0 src1_sel:DWORD
	v_lshrrev_b16_e32 v58, 10, v20
	v_mul_lo_u16_e32 v20, 6, v58
	v_sub_u16_e32 v59, v47, v20
	v_lshlrev_b32_sdwa v20, v56, v59 dst_sel:DWORD dst_unused:UNUSED_PAD src0_sel:DWORD src1_sel:BYTE_0
	global_load_dwordx4 v[20:23], v20, s[8:9] offset:32
	s_mov_b32 s0, 0xaaab
	v_mul_u32_u24_sdwa v24, v46, s0 dst_sel:DWORD dst_unused:UNUSED_PAD src0_sel:WORD_0 src1_sel:DWORD
	v_lshrrev_b32_e32 v66, 18, v24
	v_mul_lo_u16_e32 v24, 6, v66
	v_sub_u16_e32 v67, v46, v24
	v_lshlrev_b32_e32 v24, 4, v67
	global_load_dwordx4 v[24:27], v24, s[8:9] offset:32
	v_mul_u32_u24_sdwa v28, v48, s0 dst_sel:DWORD dst_unused:UNUSED_PAD src0_sel:WORD_0 src1_sel:DWORD
	v_lshrrev_b32_e32 v68, 18, v28
	v_mul_lo_u16_e32 v28, 6, v68
	v_mul_u32_u24_sdwa v33, v49, s0 dst_sel:DWORD dst_unused:UNUSED_PAD src0_sel:WORD_0 src1_sel:DWORD
	v_sub_u16_e32 v69, v48, v28
	v_lshrrev_b32_e32 v70, 18, v33
	v_lshlrev_b32_e32 v28, 4, v69
	global_load_dwordx4 v[28:31], v28, s[8:9] offset:32
	v_mul_lo_u16_e32 v33, 6, v70
	v_sub_u16_e32 v71, v49, v33
	v_lshlrev_b32_e32 v33, 4, v71
	global_load_dwordx4 v[33:36], v33, s[8:9] offset:32
	ds_read2_b32 v[54:55], v15 offset0:108 offset1:234
	ds_read_b32 v72, v10
	ds_read_b32 v73, v6
	;; [unrolled: 1-line block ×5, first 2 shown]
	ds_read_b32 v77, v43 offset:7056
	v_mul_u32_u24_e32 v12, 0x48, v12
	s_mov_b32 s0, 0xe38f
	s_waitcnt vmcnt(4) lgkmcnt(5)
	v_mul_f32_e32 v78, v72, v17
	v_fma_f32 v78, v64, v16, -v78
	v_mul_f32_e32 v64, v64, v17
	v_fmac_f32_e32 v64, v72, v16
	v_mul_f32_e32 v16, v54, v19
	v_fma_f32 v72, v37, v18, -v16
	ds_read2_b32 v[16:17], v13 offset0:116 offset1:242
	v_mul_f32_e32 v37, v37, v19
	v_fmac_f32_e32 v37, v54, v18
	s_waitcnt vmcnt(3)
	v_mul_f32_e32 v18, v55, v23
	v_fma_f32 v54, v38, v22, -v18
	s_waitcnt lgkmcnt(0)
	v_mul_f32_e32 v18, v16, v21
	v_mul_f32_e32 v23, v38, v23
	v_fma_f32 v38, v39, v20, -v18
	ds_read2_b32 v[18:19], v11 offset0:104 offset1:230
	v_mul_f32_e32 v21, v39, v21
	v_fmac_f32_e32 v21, v16, v20
	s_waitcnt vmcnt(2)
	v_mul_f32_e32 v16, v17, v25
	v_fmac_f32_e32 v23, v55, v22
	v_fma_f32 v20, v40, v24, -v16
	v_mul_f32_e32 v22, v40, v25
	s_waitcnt lgkmcnt(0)
	v_mul_f32_e32 v16, v18, v27
	v_fmac_f32_e32 v22, v17, v24
	v_fma_f32 v24, v50, v26, -v16
	ds_read2_b32 v[16:17], v9 offset0:112 offset1:238
	v_mul_f32_e32 v25, v50, v27
	v_fmac_f32_e32 v25, v18, v26
	s_waitcnt vmcnt(1)
	v_mul_f32_e32 v26, v51, v31
	v_mul_f32_e32 v18, v19, v31
	v_fmac_f32_e32 v26, v19, v30
	s_waitcnt lgkmcnt(0)
	v_mul_f32_e32 v19, v16, v29
	v_mul_f32_e32 v27, v52, v29
	v_fma_f32 v19, v52, v28, -v19
	v_fmac_f32_e32 v27, v16, v28
	s_waitcnt vmcnt(0)
	v_mul_f32_e32 v16, v17, v34
	v_mul_f32_e32 v28, v53, v34
	v_fma_f32 v16, v53, v33, -v16
	v_fmac_f32_e32 v28, v17, v33
	ds_read_b32 v17, v43
	v_add_f32_e32 v33, v78, v72
	v_mov_b32_e32 v40, 2
	v_add_f32_e32 v31, v57, v78
	v_fmac_f32_e32 v57, -0.5, v33
	v_lshlrev_b32_sdwa v14, v40, v14 dst_sel:DWORD dst_unused:UNUSED_PAD src0_sel:DWORD src1_sel:BYTE_0
	v_add3_u32 v12, 0, v12, v14
	v_sub_f32_e32 v14, v64, v37
	v_mov_b32_e32 v33, v57
	v_add_f32_e32 v31, v31, v72
	v_fmac_f32_e32 v33, 0x3f5db3d7, v14
	s_waitcnt lgkmcnt(0)
	s_barrier
	ds_write2_b32 v12, v31, v33 offset1:6
	v_add_f32_e32 v31, v64, v37
	v_fmac_f32_e32 v57, 0xbf5db3d7, v14
	v_add_f32_e32 v14, v17, v64
	v_fmac_f32_e32 v17, -0.5, v31
	v_sub_f32_e32 v31, v78, v72
	v_mov_b32_e32 v34, v17
	v_add_f32_e32 v33, v38, v54
	v_fma_f32 v18, v51, v30, -v18
	v_mul_f32_e32 v29, v77, v36
	v_mul_f32_e32 v30, v65, v36
	v_fmac_f32_e32 v34, 0xbf5db3d7, v31
	v_fmac_f32_e32 v17, 0x3f5db3d7, v31
	v_add_f32_e32 v31, v63, v38
	v_fmac_f32_e32 v63, -0.5, v33
	v_fma_f32 v29, v65, v35, -v29
	v_fmac_f32_e32 v30, v77, v35
	v_sub_f32_e32 v33, v21, v23
	v_mov_b32_e32 v35, v63
	v_fmac_f32_e32 v35, 0x3f5db3d7, v33
	v_fmac_f32_e32 v63, 0xbf5db3d7, v33
	v_add_f32_e32 v33, v73, v21
	v_add_f32_e32 v21, v21, v23
	v_fmac_f32_e32 v73, -0.5, v21
	v_add_f32_e32 v36, v33, v23
	v_add_f32_e32 v21, v31, v54
	v_sub_f32_e32 v23, v38, v54
	v_mov_b32_e32 v31, v73
	v_add_f32_e32 v33, v20, v24
	v_fmac_f32_e32 v31, 0xbf5db3d7, v23
	v_fmac_f32_e32 v73, 0x3f5db3d7, v23
	v_add_f32_e32 v23, v60, v20
	v_fmac_f32_e32 v60, -0.5, v33
	v_add_f32_e32 v14, v14, v37
	v_sub_f32_e32 v33, v22, v25
	v_mov_b32_e32 v37, v60
	v_fmac_f32_e32 v37, 0x3f5db3d7, v33
	v_fmac_f32_e32 v60, 0xbf5db3d7, v33
	v_add_f32_e32 v33, v74, v22
	v_add_f32_e32 v22, v22, v25
	v_fmac_f32_e32 v74, -0.5, v22
	v_add_f32_e32 v38, v33, v25
	v_add_f32_e32 v22, v23, v24
	v_sub_f32_e32 v20, v20, v24
	v_mov_b32_e32 v25, v74
	v_add_f32_e32 v23, v19, v18
	v_fmac_f32_e32 v25, 0xbf5db3d7, v20
	v_fmac_f32_e32 v74, 0x3f5db3d7, v20
	v_add_f32_e32 v20, v61, v19
	v_fmac_f32_e32 v61, -0.5, v23
	v_sub_f32_e32 v23, v27, v26
	v_mov_b32_e32 v24, v61
	v_fmac_f32_e32 v24, 0x3f5db3d7, v23
	v_fmac_f32_e32 v61, 0xbf5db3d7, v23
	v_add_f32_e32 v23, v75, v27
	v_add_f32_e32 v39, v23, v26
	;; [unrolled: 1-line block ×3, first 2 shown]
	v_fmac_f32_e32 v75, -0.5, v23
	v_add_f32_e32 v20, v20, v18
	v_sub_f32_e32 v18, v19, v18
	v_mov_b32_e32 v19, v75
	v_add_f32_e32 v23, v16, v29
	v_fmac_f32_e32 v19, 0xbf5db3d7, v18
	v_fmac_f32_e32 v75, 0x3f5db3d7, v18
	v_add_f32_e32 v18, v62, v16
	v_fmac_f32_e32 v62, -0.5, v23
	v_sub_f32_e32 v23, v28, v30
	v_mov_b32_e32 v26, v62
	v_fmac_f32_e32 v26, 0x3f5db3d7, v23
	v_fmac_f32_e32 v62, 0xbf5db3d7, v23
	v_add_f32_e32 v23, v76, v28
	v_add_f32_e32 v27, v23, v30
	;; [unrolled: 1-line block ×3, first 2 shown]
	v_fmac_f32_e32 v76, -0.5, v23
	v_sub_f32_e32 v16, v16, v29
	v_mov_b32_e32 v28, v76
	v_fmac_f32_e32 v28, 0xbf5db3d7, v16
	v_fmac_f32_e32 v76, 0x3f5db3d7, v16
	v_mul_u32_u24_e32 v16, 0x48, v58
	v_lshlrev_b32_sdwa v23, v40, v59 dst_sel:DWORD dst_unused:UNUSED_PAD src0_sel:DWORD src1_sel:BYTE_0
	v_add3_u32 v16, 0, v16, v23
	ds_write_b32 v12, v57 offset:48
	ds_write2_b32 v16, v21, v35 offset1:6
	ds_write_b32 v16, v63 offset:48
	v_mul_u32_u24_e32 v21, 0x48, v66
	v_lshlrev_b32_e32 v23, 2, v67
	v_add3_u32 v21, 0, v21, v23
	ds_write2_b32 v21, v22, v37 offset1:6
	ds_write_b32 v21, v60 offset:48
	v_mul_u32_u24_e32 v22, 0x48, v68
	v_lshlrev_b32_e32 v23, 2, v69
	v_add3_u32 v22, 0, v22, v23
	ds_write2_b32 v22, v20, v24 offset1:6
	ds_write_b32 v22, v61 offset:48
	v_mul_u32_u24_e32 v20, 0x48, v70
	v_lshlrev_b32_e32 v23, 2, v71
	v_add_f32_e32 v18, v18, v29
	v_add3_u32 v20, 0, v20, v23
	ds_write2_b32 v20, v18, v26 offset1:6
	ds_write_b32 v20, v62 offset:48
	s_waitcnt lgkmcnt(0)
	s_barrier
	ds_read_b32 v70, v43
	ds_read2_b32 v[23:24], v15 offset0:108 offset1:234
	ds_read2_b32 v[29:30], v13 offset0:116 offset1:242
	;; [unrolled: 1-line block ×4, first 2 shown]
	ds_read_b32 v71, v32
	ds_read_b32 v72, v45
	;; [unrolled: 1-line block ×5, first 2 shown]
	ds_read_b32 v78, v43 offset:7056
	s_waitcnt lgkmcnt(0)
	s_barrier
	ds_write2_b32 v12, v14, v34 offset1:6
	ds_write_b32 v12, v17 offset:48
	ds_write2_b32 v16, v36, v31 offset1:6
	ds_write_b32 v16, v73 offset:48
	;; [unrolled: 2-line block ×5, first 2 shown]
	v_mov_b32_e32 v12, 57
	v_mul_lo_u16_sdwa v14, v41, v12 dst_sel:DWORD dst_unused:UNUSED_PAD src0_sel:BYTE_0 src1_sel:DWORD
	v_mul_lo_u16_sdwa v12, v47, v12 dst_sel:DWORD dst_unused:UNUSED_PAD src0_sel:BYTE_0 src1_sel:DWORD
	v_lshrrev_b16_e32 v73, 10, v14
	v_lshrrev_b16_e32 v75, 10, v12
	v_mul_lo_u16_e32 v14, 18, v73
	v_mul_lo_u16_e32 v12, 18, v75
	v_sub_u16_e32 v74, v41, v14
	v_sub_u16_e32 v76, v47, v12
	v_lshlrev_b32_sdwa v14, v56, v74 dst_sel:DWORD dst_unused:UNUSED_PAD src0_sel:DWORD src1_sel:BYTE_0
	v_lshlrev_b32_sdwa v12, v56, v76 dst_sel:DWORD dst_unused:UNUSED_PAD src0_sel:DWORD src1_sel:BYTE_0
	s_waitcnt lgkmcnt(0)
	s_barrier
	global_load_dwordx4 v[16:19], v14, s[8:9] offset:128
	global_load_dwordx4 v[35:38], v12, s[8:9] offset:128
	v_mul_u32_u24_sdwa v12, v46, s0 dst_sel:DWORD dst_unused:UNUSED_PAD src0_sel:WORD_0 src1_sel:DWORD
	v_lshrrev_b32_e32 v79, 20, v12
	v_mul_lo_u16_e32 v12, 18, v79
	v_sub_u16_e32 v80, v46, v12
	v_lshlrev_b32_e32 v12, 4, v80
	global_load_dwordx4 v[58:61], v12, s[8:9] offset:128
	v_mul_u32_u24_sdwa v12, v48, s0 dst_sel:DWORD dst_unused:UNUSED_PAD src0_sel:WORD_0 src1_sel:DWORD
	v_lshrrev_b32_e32 v81, 20, v12
	v_mul_lo_u16_e32 v12, 18, v81
	v_sub_u16_e32 v82, v48, v12
	v_lshlrev_b32_e32 v12, 4, v82
	;; [unrolled: 6-line block ×3, first 2 shown]
	global_load_dwordx4 v[48:51], v12, s[8:9] offset:128
	ds_read2_b32 v[14:15], v15 offset0:108 offset1:234
	ds_read2_b32 v[12:13], v13 offset0:116 offset1:242
	ds_read_b32 v10, v10
	ds_read_b32 v21, v6
	;; [unrolled: 1-line block ×5, first 2 shown]
	ds_read_b32 v85, v43 offset:7056
	v_cmp_gt_u32_e64 s[0:1], 18, v41
	s_waitcnt vmcnt(4)
	v_mul_f32_e32 v52, v26, v17
	s_waitcnt lgkmcnt(5)
	v_mul_f32_e32 v8, v10, v17
	v_fmac_f32_e32 v52, v10, v16
	ds_read2_b32 v[10:11], v11 offset0:104 offset1:230
	v_fma_f32 v28, v26, v16, -v8
	v_mul_f32_e32 v8, v14, v19
	v_fma_f32 v53, v23, v18, -v8
	s_waitcnt vmcnt(3)
	v_mul_f32_e32 v8, v12, v36
	v_fma_f32 v26, v29, v35, -v8
	v_mul_f32_e32 v8, v15, v38
	v_fma_f32 v31, v24, v37, -v8
	s_waitcnt vmcnt(2)
	v_mul_f32_e32 v8, v13, v59
	v_fma_f32 v25, v30, v58, -v8
	s_waitcnt lgkmcnt(0)
	v_mul_f32_e32 v8, v10, v61
	v_mul_f32_e32 v39, v29, v36
	v_fma_f32 v36, v66, v60, -v8
	ds_read2_b32 v[8:9], v9 offset0:112 offset1:238
	v_mul_f32_e32 v56, v66, v61
	v_fmac_f32_e32 v56, v10, v60
	s_waitcnt vmcnt(1)
	v_mul_f32_e32 v10, v11, v65
	v_mul_f32_e32 v54, v68, v63
	v_mul_f32_e32 v55, v24, v38
	v_fma_f32 v24, v67, v64, -v10
	s_waitcnt lgkmcnt(0)
	v_mul_f32_e32 v10, v8, v63
	v_fmac_f32_e32 v54, v8, v62
	s_waitcnt vmcnt(0)
	v_mul_f32_e32 v8, v9, v49
	v_mul_f32_e32 v27, v69, v49
	;; [unrolled: 1-line block ×3, first 2 shown]
	v_fma_f32 v23, v69, v48, -v8
	v_fmac_f32_e32 v27, v9, v48
	v_mul_f32_e32 v8, v85, v51
	v_add_f32_e32 v9, v28, v53
	v_fmac_f32_e32 v57, v14, v18
	v_fmac_f32_e32 v39, v12, v35
	v_mul_f32_e32 v35, v30, v59
	v_mul_f32_e32 v30, v67, v65
	v_fma_f32 v59, v78, v50, -v8
	v_add_f32_e32 v8, v70, v28
	v_fmac_f32_e32 v70, -0.5, v9
	v_fmac_f32_e32 v30, v11, v64
	v_fma_f32 v29, v68, v62, -v10
	v_sub_f32_e32 v9, v52, v57
	v_mov_b32_e32 v10, v70
	v_add_f32_e32 v11, v26, v31
	v_fmac_f32_e32 v55, v15, v37
	v_fmac_f32_e32 v10, 0x3f5db3d7, v9
	;; [unrolled: 1-line block ×3, first 2 shown]
	v_add_f32_e32 v9, v77, v26
	v_fmac_f32_e32 v77, -0.5, v11
	v_fmac_f32_e32 v35, v13, v58
	v_sub_f32_e32 v11, v39, v55
	v_mov_b32_e32 v12, v77
	v_add_f32_e32 v13, v25, v36
	v_fmac_f32_e32 v12, 0x3f5db3d7, v11
	v_fmac_f32_e32 v77, 0xbf5db3d7, v11
	v_add_f32_e32 v11, v71, v25
	v_fmac_f32_e32 v71, -0.5, v13
	v_sub_f32_e32 v13, v35, v56
	v_mov_b32_e32 v14, v71
	v_fmac_f32_e32 v14, 0x3f5db3d7, v13
	v_fmac_f32_e32 v71, 0xbf5db3d7, v13
	v_mul_u32_u24_e32 v13, 0xd8, v73
	v_lshlrev_b32_sdwa v15, v40, v74 dst_sel:DWORD dst_unused:UNUSED_PAD src0_sel:DWORD src1_sel:BYTE_0
	v_add3_u32 v61, 0, v13, v15
	v_add_f32_e32 v8, v8, v53
	ds_read_b32 v58, v43
	s_waitcnt lgkmcnt(0)
	s_barrier
	ds_write2_b32 v61, v8, v10 offset1:18
	v_add_f32_e32 v10, v29, v24
	v_add_f32_e32 v8, v72, v29
	v_fmac_f32_e32 v72, -0.5, v10
	v_mul_f32_e32 v60, v78, v51
	v_sub_f32_e32 v10, v54, v30
	v_mov_b32_e32 v13, v72
	v_add_f32_e32 v15, v23, v59
	v_fmac_f32_e32 v60, v85, v50
	v_fmac_f32_e32 v13, 0x3f5db3d7, v10
	;; [unrolled: 1-line block ×3, first 2 shown]
	v_add_f32_e32 v10, v33, v23
	v_fmac_f32_e32 v33, -0.5, v15
	v_sub_f32_e32 v15, v27, v60
	v_mov_b32_e32 v16, v33
	v_fmac_f32_e32 v16, 0x3f5db3d7, v15
	v_fmac_f32_e32 v33, 0xbf5db3d7, v15
	v_lshlrev_b32_sdwa v15, v40, v76 dst_sel:DWORD dst_unused:UNUSED_PAD src0_sel:DWORD src1_sel:BYTE_0
	v_mul_u32_u24_e32 v17, 0xd8, v75
	v_add_f32_e32 v9, v9, v31
	v_add3_u32 v62, 0, v17, v15
	ds_write_b32 v61, v70 offset:144
	ds_write2_b32 v62, v9, v12 offset1:18
	ds_write_b32 v62, v77 offset:144
	v_mul_u32_u24_e32 v9, 0xd8, v79
	v_lshlrev_b32_e32 v12, 2, v80
	v_add_f32_e32 v11, v11, v36
	v_add3_u32 v63, 0, v9, v12
	ds_write2_b32 v63, v11, v14 offset1:18
	ds_write_b32 v63, v71 offset:144
	v_mul_u32_u24_e32 v9, 0xd8, v81
	v_lshlrev_b32_e32 v11, 2, v82
	v_add_f32_e32 v8, v8, v24
	v_add3_u32 v64, 0, v9, v11
	;; [unrolled: 6-line block ×3, first 2 shown]
	v_add_u32_e32 v66, 0x400, v43
	ds_write2_b32 v65, v10, v16 offset1:18
	ds_write_b32 v65, v33 offset:144
	s_waitcnt lgkmcnt(0)
	s_barrier
	ds_read2_b32 v[8:9], v66 offset0:14 offset1:140
	v_add_u32_e32 v67, 0x800, v43
	v_add_u32_e32 v68, 0xc00, v43
	;; [unrolled: 1-line block ×5, first 2 shown]
	ds_read_b32 v38, v43
	ds_read_b32 v37, v6
	ds_read2_b32 v[18:19], v67 offset0:28 offset1:154
	ds_read2_b32 v[16:17], v68 offset0:42 offset1:168
	ds_read2_b32 v[14:15], v69 offset0:56 offset1:182
	ds_read2_b32 v[12:13], v70 offset0:70 offset1:196
	ds_read2_b32 v[10:11], v71 offset0:84 offset1:210
                                        ; implicit-def: $vgpr51
                                        ; implicit-def: $vgpr49
                                        ; implicit-def: $vgpr40
                                        ; implicit-def: $vgpr48
                                        ; implicit-def: $vgpr50
	s_and_saveexec_b64 s[4:5], s[0:1]
	s_cbranch_execz .LBB0_21
; %bb.20:
	ds_read_b32 v3, v43 offset:2088
	ds_read_b32 v51, v43 offset:3168
	;; [unrolled: 1-line block ×5, first 2 shown]
	ds_read_b32 v33, v32
	ds_read_b32 v40, v43 offset:7488
.LBB0_21:
	s_or_b64 exec, exec, s[4:5]
	v_add_f32_e32 v72, v58, v52
	v_add_f32_e32 v52, v52, v57
	v_fmac_f32_e32 v58, -0.5, v52
	v_sub_f32_e32 v28, v28, v53
	v_mov_b32_e32 v52, v58
	v_fmac_f32_e32 v52, 0xbf5db3d7, v28
	v_fmac_f32_e32 v58, 0x3f5db3d7, v28
	v_add_f32_e32 v28, v21, v39
	v_add_f32_e32 v39, v39, v55
	v_fmac_f32_e32 v21, -0.5, v39
	v_sub_f32_e32 v26, v26, v31
	v_mov_b32_e32 v31, v21
	v_fmac_f32_e32 v31, 0xbf5db3d7, v26
	v_fmac_f32_e32 v21, 0x3f5db3d7, v26
	v_add_f32_e32 v26, v20, v35
	v_add_f32_e32 v35, v35, v56
	v_fmac_f32_e32 v20, -0.5, v35
	v_sub_f32_e32 v25, v25, v36
	v_mov_b32_e32 v35, v20
	v_fmac_f32_e32 v35, 0xbf5db3d7, v25
	v_fmac_f32_e32 v20, 0x3f5db3d7, v25
	v_add_f32_e32 v25, v22, v54
	v_add_f32_e32 v25, v25, v30
	;; [unrolled: 1-line block ×3, first 2 shown]
	v_fmac_f32_e32 v22, -0.5, v30
	v_sub_f32_e32 v24, v29, v24
	v_mov_b32_e32 v29, v22
	v_fmac_f32_e32 v29, 0xbf5db3d7, v24
	v_fmac_f32_e32 v22, 0x3f5db3d7, v24
	v_add_f32_e32 v24, v34, v27
	v_add_f32_e32 v27, v27, v60
	v_fmac_f32_e32 v34, -0.5, v27
	v_sub_f32_e32 v23, v23, v59
	v_mov_b32_e32 v27, v34
	v_add_f32_e32 v72, v72, v57
	v_add_f32_e32 v28, v28, v55
	;; [unrolled: 1-line block ×4, first 2 shown]
	v_fmac_f32_e32 v27, 0xbf5db3d7, v23
	v_fmac_f32_e32 v34, 0x3f5db3d7, v23
	s_waitcnt lgkmcnt(0)
	s_barrier
	ds_write2_b32 v61, v72, v52 offset1:18
	ds_write_b32 v61, v58 offset:144
	ds_write2_b32 v62, v28, v31 offset1:18
	ds_write_b32 v62, v21 offset:144
	;; [unrolled: 2-line block ×5, first 2 shown]
	s_waitcnt lgkmcnt(0)
	s_barrier
	ds_read2_b32 v[30:31], v66 offset0:14 offset1:140
	ds_read2_b32 v[28:29], v67 offset0:28 offset1:154
	;; [unrolled: 1-line block ×6, first 2 shown]
	ds_read_b32 v36, v43
	ds_read_b32 v35, v6
                                        ; implicit-def: $vgpr56
                                        ; implicit-def: $vgpr54
                                        ; implicit-def: $vgpr52
                                        ; implicit-def: $vgpr53
                                        ; implicit-def: $vgpr55
	s_and_saveexec_b64 s[4:5], s[0:1]
	s_cbranch_execz .LBB0_23
; %bb.22:
	ds_read_b32 v7, v43 offset:2088
	ds_read_b32 v56, v43 offset:3168
	;; [unrolled: 1-line block ×5, first 2 shown]
	ds_read_b32 v34, v32
	ds_read_b32 v52, v43 offset:7488
.LBB0_23:
	s_or_b64 exec, exec, s[4:5]
	v_mov_b32_e32 v69, 19
	v_mul_lo_u16_sdwa v39, v41, v69 dst_sel:DWORD dst_unused:UNUSED_PAD src0_sel:BYTE_0 src1_sel:DWORD
	v_lshrrev_b16_e32 v70, 10, v39
	v_mul_lo_u16_e32 v39, 54, v70
	v_sub_u16_e32 v71, v41, v39
	v_mov_b32_e32 v72, 6
	v_mul_u32_u24_sdwa v39, v71, v72 dst_sel:DWORD dst_unused:UNUSED_PAD src0_sel:BYTE_0 src1_sel:DWORD
	v_lshlrev_b32_e32 v39, 3, v39
	global_load_dwordx4 v[57:60], v39, s[8:9] offset:448
	global_load_dwordx4 v[61:64], v39, s[8:9] offset:432
	;; [unrolled: 1-line block ×3, first 2 shown]
	s_mov_b32 s6, 0x3f5ff5aa
	s_mov_b32 s7, 0x3f3bfb3b
	;; [unrolled: 1-line block ×4, first 2 shown]
	s_waitcnt vmcnt(0) lgkmcnt(7)
	v_mul_f32_e32 v39, v30, v66
	v_fma_f32 v39, v8, v65, -v39
	v_mul_f32_e32 v8, v8, v66
	v_fmac_f32_e32 v8, v30, v65
	s_waitcnt lgkmcnt(6)
	v_mul_f32_e32 v30, v28, v68
	v_fma_f32 v30, v18, v67, -v30
	v_mul_f32_e32 v18, v18, v68
	v_fmac_f32_e32 v18, v28, v67
	s_waitcnt lgkmcnt(5)
	;; [unrolled: 5-line block ×5, first 2 shown]
	v_mul_f32_e32 v22, v20, v60
	v_fma_f32 v22, v10, v59, -v22
	v_mul_f32_e32 v10, v10, v60
	v_fmac_f32_e32 v10, v20, v59
	v_mul_lo_u16_sdwa v20, v47, v69 dst_sel:DWORD dst_unused:UNUSED_PAD src0_sel:BYTE_0 src1_sel:DWORD
	v_lshrrev_b16_e32 v69, 10, v20
	v_mul_lo_u16_e32 v20, 54, v69
	v_sub_u16_e32 v73, v47, v20
	v_mul_u32_u24_sdwa v20, v73, v72 dst_sel:DWORD dst_unused:UNUSED_PAD src0_sel:BYTE_0 src1_sel:DWORD
	v_lshlrev_b32_e32 v20, 3, v20
	global_load_dwordx4 v[57:60], v20, s[8:9] offset:448
	global_load_dwordx4 v[61:64], v20, s[8:9] offset:432
	;; [unrolled: 1-line block ×3, first 2 shown]
	s_waitcnt vmcnt(0)
	v_mul_f32_e32 v20, v31, v66
	v_fma_f32 v20, v9, v65, -v20
	v_mul_f32_e32 v9, v9, v66
	v_fmac_f32_e32 v9, v31, v65
	v_mul_f32_e32 v31, v29, v68
	v_fma_f32 v31, v19, v67, -v31
	v_mul_f32_e32 v19, v19, v68
	v_fmac_f32_e32 v19, v29, v67
	;; [unrolled: 4-line block ×6, first 2 shown]
	v_lshrrev_b16_e32 v21, 1, v46
	v_mul_u32_u24_e32 v21, 0x97b5, v21
	v_lshrrev_b32_e32 v21, 20, v21
	v_mul_lo_u16_e32 v21, 54, v21
	v_sub_u16_e32 v21, v46, v21
	v_mul_u32_u24_e32 v46, 6, v21
	v_lshlrev_b32_e32 v46, 3, v46
	global_load_dwordx4 v[57:60], v46, s[8:9] offset:448
	global_load_dwordx4 v[61:64], v46, s[8:9] offset:432
	;; [unrolled: 1-line block ×3, first 2 shown]
	s_waitcnt vmcnt(0) lgkmcnt(0)
	s_barrier
	v_mul_f32_e32 v46, v7, v66
	v_fma_f32 v46, v3, v65, -v46
	v_mul_f32_e32 v3, v3, v66
	v_fmac_f32_e32 v3, v7, v65
	v_mul_f32_e32 v7, v56, v68
	v_fma_f32 v47, v51, v67, -v7
	v_mul_f32_e32 v51, v51, v68
	v_mul_f32_e32 v7, v55, v62
	v_fmac_f32_e32 v51, v56, v67
	v_fma_f32 v56, v50, v61, -v7
	v_mul_f32_e32 v50, v50, v62
	v_mul_f32_e32 v7, v54, v64
	v_fmac_f32_e32 v50, v55, v61
	;; [unrolled: 4-line block ×4, first 2 shown]
	v_fma_f32 v53, v40, v59, -v7
	v_mul_f32_e32 v40, v40, v60
	v_add_f32_e32 v7, v39, v22
	v_add_f32_e32 v57, v30, v24
	v_fmac_f32_e32 v40, v52, v59
	v_add_f32_e32 v59, v28, v26
	v_add_f32_e32 v61, v57, v7
	v_sub_f32_e32 v52, v8, v10
	v_sub_f32_e32 v58, v18, v12
	;; [unrolled: 1-line block ×6, first 2 shown]
	v_add_f32_e32 v59, v59, v61
	v_add_f32_e32 v63, v60, v58
	v_sub_f32_e32 v64, v60, v58
	v_sub_f32_e32 v58, v58, v52
	v_add_f32_e32 v61, v38, v59
	v_sub_f32_e32 v60, v52, v60
	v_add_f32_e32 v52, v63, v52
	v_mul_f32_e32 v7, 0x3f4a47b2, v7
	v_mul_f32_e32 v38, 0x3d64c772, v57
	;; [unrolled: 1-line block ×4, first 2 shown]
	v_mov_b32_e32 v65, v61
	v_fmac_f32_e32 v65, 0xbf955555, v59
	v_fma_f32 v38, v62, s7, -v38
	v_fma_f32 v59, v62, s10, -v7
	v_fmac_f32_e32 v7, 0x3d64c772, v57
	v_fma_f32 v57, v58, s6, -v63
	v_fma_f32 v58, v60, s11, -v64
	v_add_f32_e32 v38, v38, v65
	v_add_f32_e32 v59, v59, v65
	v_fmac_f32_e32 v57, 0x3ee1c552, v52
	v_fmac_f32_e32 v58, 0x3ee1c552, v52
	v_fmac_f32_e32 v63, 0x3eae86e6, v60
	v_add_f32_e32 v60, v58, v59
	v_sub_f32_e32 v62, v38, v57
	v_add_f32_e32 v64, v57, v38
	v_sub_f32_e32 v58, v59, v58
	v_add_f32_e32 v38, v20, v23
	v_add_f32_e32 v59, v31, v25
	;; [unrolled: 1-line block ×3, first 2 shown]
	v_fmac_f32_e32 v63, 0x3ee1c552, v52
	v_add_f32_e32 v65, v29, v27
	v_add_f32_e32 v67, v59, v38
	;; [unrolled: 1-line block ×3, first 2 shown]
	v_sub_f32_e32 v7, v7, v63
	v_sub_f32_e32 v57, v9, v11
	v_sub_f32_e32 v63, v19, v13
	v_sub_f32_e32 v66, v15, v17
	v_sub_f32_e32 v68, v59, v38
	v_sub_f32_e32 v38, v38, v65
	v_sub_f32_e32 v59, v65, v59
	v_add_f32_e32 v65, v65, v67
	v_add_f32_e32 v72, v66, v63
	v_sub_f32_e32 v74, v66, v63
	v_sub_f32_e32 v63, v63, v57
	v_add_f32_e32 v37, v37, v65
	v_sub_f32_e32 v66, v57, v66
	v_add_f32_e32 v57, v72, v57
	v_mul_f32_e32 v38, 0x3f4a47b2, v38
	v_mul_f32_e32 v67, 0x3d64c772, v59
	;; [unrolled: 1-line block ×4, first 2 shown]
	v_mov_b32_e32 v75, v37
	v_fmac_f32_e32 v75, 0xbf955555, v65
	v_fma_f32 v65, v68, s7, -v67
	v_fma_f32 v67, v68, s10, -v38
	v_fmac_f32_e32 v38, 0x3d64c772, v59
	v_fma_f32 v59, v63, s6, -v72
	v_fma_f32 v63, v66, s11, -v74
	v_fmac_f32_e32 v72, 0x3eae86e6, v66
	v_add_f32_e32 v66, v67, v75
	v_fmac_f32_e32 v63, 0x3ee1c552, v57
	v_add_f32_e32 v38, v38, v75
	v_add_f32_e32 v65, v65, v75
	v_fmac_f32_e32 v72, 0x3ee1c552, v57
	v_fmac_f32_e32 v59, 0x3ee1c552, v57
	v_add_f32_e32 v68, v63, v66
	v_sub_f32_e32 v63, v66, v63
	v_mov_b32_e32 v66, 2
	v_add_f32_e32 v67, v72, v38
	v_sub_f32_e32 v74, v65, v59
	v_add_f32_e32 v59, v59, v65
	v_sub_f32_e32 v65, v38, v72
	v_mul_u32_u24_e32 v38, 0x5e8, v70
	v_lshlrev_b32_sdwa v57, v66, v71 dst_sel:DWORD dst_unused:UNUSED_PAD src0_sel:DWORD src1_sel:BYTE_0
	v_add3_u32 v38, 0, v38, v57
	v_add_u32_e32 v57, 0x200, v38
	ds_write2_b32 v38, v61, v52 offset1:54
	ds_write2_b32 v38, v60, v62 offset0:108 offset1:162
	ds_write2_b32 v57, v64, v58 offset0:88 offset1:142
	ds_write_b32 v38, v7 offset:1296
	v_mul_u32_u24_e32 v7, 0x5e8, v69
	v_lshlrev_b32_sdwa v52, v66, v73 dst_sel:DWORD dst_unused:UNUSED_PAD src0_sel:DWORD src1_sel:BYTE_0
	v_add3_u32 v52, 0, v7, v52
	ds_write2_b32 v52, v37, v67 offset1:54
	ds_write2_b32 v52, v68, v74 offset0:108 offset1:162
	v_add_u32_e32 v58, 0x200, v52
	v_lshl_add_u32 v37, v21, 2, 0
	ds_write2_b32 v58, v59, v63 offset0:88 offset1:142
	ds_write_b32 v52, v65 offset:1296
	s_and_saveexec_b64 s[4:5], s[0:1]
	s_cbranch_execz .LBB0_25
; %bb.24:
	v_add_f32_e32 v7, v46, v53
	v_add_f32_e32 v21, v56, v55
	v_sub_f32_e32 v59, v7, v21
	v_mul_f32_e32 v59, 0x3f4a47b2, v59
	v_add_f32_e32 v60, v47, v54
	v_sub_f32_e32 v61, v21, v60
	v_mov_b32_e32 v63, v59
	v_mul_f32_e32 v62, 0x3d64c772, v61
	v_fmac_f32_e32 v63, 0x3d64c772, v61
	v_add_f32_e32 v61, v60, v7
	v_add_f32_e32 v21, v21, v61
	;; [unrolled: 1-line block ×3, first 2 shown]
	v_mov_b32_e32 v61, v33
	v_sub_f32_e32 v64, v49, v50
	v_sub_f32_e32 v66, v51, v48
	v_fmac_f32_e32 v61, 0xbf955555, v21
	v_sub_f32_e32 v67, v64, v66
	v_add_f32_e32 v21, v63, v61
	v_sub_f32_e32 v63, v3, v40
	v_mul_f32_e32 v67, 0xbf08b237, v67
	v_sub_f32_e32 v65, v63, v64
	v_mov_b32_e32 v68, v67
	v_add_f32_e32 v64, v64, v66
	v_sub_f32_e32 v7, v60, v7
	v_sub_f32_e32 v60, v66, v63
	v_fmac_f32_e32 v68, 0x3eae86e6, v65
	v_add_f32_e32 v64, v64, v63
	v_fma_f32 v59, v7, s10, -v59
	v_mul_f32_e32 v63, 0x3f5ff5aa, v60
	v_fma_f32 v60, v60, s6, -v67
	v_fma_f32 v7, v7, s7, -v62
	v_fmac_f32_e32 v68, 0x3ee1c552, v64
	v_fma_f32 v63, v65, s11, -v63
	v_fmac_f32_e32 v60, 0x3ee1c552, v64
	v_add_f32_e32 v7, v7, v61
	v_sub_f32_e32 v69, v21, v68
	v_add_f32_e32 v59, v59, v61
	v_fmac_f32_e32 v63, 0x3ee1c552, v64
	v_add_f32_e32 v61, v60, v7
	v_sub_f32_e32 v7, v7, v60
	v_add_f32_e32 v21, v68, v21
	v_add_u32_e32 v60, 0x1600, v37
	v_sub_f32_e32 v65, v59, v63
	v_add_f32_e32 v59, v63, v59
	ds_write2_b32 v60, v33, v21 offset0:104 offset1:158
	v_add_u32_e32 v21, 0x1800, v37
	ds_write2_b32 v21, v59, v7 offset0:84 offset1:138
	ds_write2_b32 v21, v61, v65 offset0:192 offset1:246
	ds_write_b32 v37, v69 offset:7344
.LBB0_25:
	s_or_b64 exec, exec, s[4:5]
	v_add_f32_e32 v7, v8, v10
	v_add_f32_e32 v10, v18, v12
	;; [unrolled: 1-line block ×4, first 2 shown]
	v_sub_f32_e32 v12, v30, v24
	v_sub_f32_e32 v16, v26, v28
	;; [unrolled: 1-line block ×5, first 2 shown]
	v_add_f32_e32 v14, v14, v18
	v_sub_f32_e32 v8, v39, v22
	v_add_f32_e32 v22, v16, v12
	v_sub_f32_e32 v24, v16, v12
	;; [unrolled: 2-line block ×3, first 2 shown]
	v_sub_f32_e32 v12, v12, v8
	v_add_f32_e32 v8, v22, v8
	v_mul_f32_e32 v7, 0x3f4a47b2, v7
	v_mul_f32_e32 v18, 0x3d64c772, v10
	;; [unrolled: 1-line block ×3, first 2 shown]
	v_mov_b32_e32 v28, v26
	v_fmac_f32_e32 v28, 0xbf955555, v14
	v_fma_f32 v14, v21, s7, -v18
	v_fma_f32 v18, v21, s10, -v7
	v_fmac_f32_e32 v7, 0x3d64c772, v10
	v_fma_f32 v10, v12, s6, -v22
	v_fmac_f32_e32 v22, 0x3eae86e6, v16
	v_mul_f32_e32 v24, 0x3f5ff5aa, v12
	v_add_f32_e32 v7, v7, v28
	v_fmac_f32_e32 v22, 0x3ee1c552, v8
	v_fma_f32 v12, v16, s11, -v24
	v_add_f32_e32 v14, v14, v28
	v_add_f32_e32 v16, v18, v28
	v_fmac_f32_e32 v10, 0x3ee1c552, v8
	v_sub_f32_e32 v28, v7, v22
	v_add_f32_e32 v39, v22, v7
	v_add_f32_e32 v7, v9, v11
	;; [unrolled: 1-line block ×4, first 2 shown]
	v_sub_f32_e32 v36, v14, v10
	v_add_f32_e32 v11, v17, v15
	v_add_f32_e32 v14, v9, v7
	v_fmac_f32_e32 v12, 0x3ee1c552, v8
	v_sub_f32_e32 v10, v31, v25
	v_sub_f32_e32 v13, v27, v29
	;; [unrolled: 1-line block ×5, first 2 shown]
	v_add_f32_e32 v11, v11, v14
	v_sub_f32_e32 v30, v16, v12
	v_add_f32_e32 v12, v12, v16
	v_sub_f32_e32 v8, v20, v23
	v_add_f32_e32 v16, v13, v10
	v_sub_f32_e32 v17, v13, v10
	v_add_f32_e32 v25, v35, v11
	v_sub_f32_e32 v13, v8, v13
	v_sub_f32_e32 v10, v10, v8
	v_add_f32_e32 v8, v16, v8
	v_mul_f32_e32 v7, 0x3f4a47b2, v7
	v_mul_f32_e32 v14, 0x3d64c772, v9
	;; [unrolled: 1-line block ×3, first 2 shown]
	v_mov_b32_e32 v18, v25
	v_mul_f32_e32 v17, 0x3f5ff5aa, v10
	v_fmac_f32_e32 v18, 0xbf955555, v11
	v_fma_f32 v11, v15, s7, -v14
	v_fma_f32 v14, v15, s10, -v7
	v_fmac_f32_e32 v7, 0x3d64c772, v9
	v_fma_f32 v9, v10, s6, -v16
	v_fmac_f32_e32 v16, 0x3eae86e6, v13
	v_fma_f32 v10, v13, s11, -v17
	v_add_f32_e32 v7, v7, v18
	v_fmac_f32_e32 v16, 0x3ee1c552, v8
	v_add_f32_e32 v11, v11, v18
	v_add_f32_e32 v13, v14, v18
	v_fmac_f32_e32 v9, 0x3ee1c552, v8
	v_fmac_f32_e32 v10, 0x3ee1c552, v8
	v_sub_f32_e32 v27, v7, v16
	v_add_f32_e32 v59, v16, v7
	v_add_u32_e32 v7, 0x1000, v43
	v_sub_f32_e32 v29, v13, v10
	v_add_f32_e32 v31, v9, v11
	v_sub_f32_e32 v11, v11, v9
	v_add_f32_e32 v35, v10, v13
	s_waitcnt lgkmcnt(0)
	s_barrier
	ds_read2_b32 v[9:10], v7 offset0:110 offset1:236
	v_add_u32_e32 v7, 0x1400, v43
	v_add_u32_e32 v15, 0xc00, v43
	v_lshl_add_u32 v23, v44, 2, 0
	ds_read2_b32 v[7:8], v7 offset0:106 offset1:232
	ds_read_b32 v19, v43
	ds_read_b32 v20, v23
	;; [unrolled: 1-line block ×3, first 2 shown]
	v_add_u32_e32 v13, 0x600, v43
	ds_read2_b32 v[17:18], v15 offset0:114 offset1:240
	v_add_u32_e32 v15, 0x1800, v43
	ds_read2_b32 v[13:14], v13 offset0:120 offset1:246
	ds_read2_b32 v[15:16], v15 offset0:102 offset1:228
	ds_read_b32 v21, v45
	ds_read_b32 v24, v32
	s_waitcnt lgkmcnt(0)
	s_barrier
	ds_write2_b32 v38, v26, v28 offset1:54
	ds_write2_b32 v38, v30, v33 offset0:108 offset1:162
	ds_write2_b32 v57, v36, v12 offset0:88 offset1:142
	ds_write_b32 v38, v39 offset:1296
	ds_write2_b32 v52, v25, v27 offset1:54
	ds_write2_b32 v52, v29, v31 offset0:108 offset1:162
	ds_write2_b32 v58, v11, v35 offset0:88 offset1:142
	ds_write_b32 v52, v59 offset:1296
	s_and_saveexec_b64 s[4:5], s[0:1]
	s_cbranch_execz .LBB0_27
; %bb.26:
	v_add_f32_e32 v3, v3, v40
	v_add_f32_e32 v12, v51, v48
	;; [unrolled: 1-line block ×4, first 2 shown]
	v_sub_f32_e32 v25, v47, v54
	v_sub_f32_e32 v27, v55, v56
	;; [unrolled: 1-line block ×5, first 2 shown]
	v_add_f32_e32 v26, v26, v28
	v_sub_f32_e32 v11, v46, v53
	v_add_f32_e32 v30, v27, v25
	v_add_f32_e32 v28, v34, v26
	v_sub_f32_e32 v31, v27, v25
	v_sub_f32_e32 v27, v11, v27
	;; [unrolled: 1-line block ×3, first 2 shown]
	v_add_f32_e32 v11, v30, v11
	v_mul_f32_e32 v30, 0x3d64c772, v12
	v_mov_b32_e32 v34, v28
	s_mov_b32 s1, 0x3f3bfb3b
	v_mul_f32_e32 v3, 0x3f4a47b2, v3
	v_mul_f32_e32 v31, 0xbf08b237, v31
	s_mov_b32 s0, 0x3f5ff5aa
	v_fmac_f32_e32 v34, 0xbf955555, v26
	v_fma_f32 v26, v29, s1, -v30
	s_mov_b32 s1, 0xbf3bfb3b
	v_mul_f32_e32 v33, 0x3f5ff5aa, v25
	v_fma_f32 v29, v29, s1, -v3
	v_fmac_f32_e32 v3, 0x3d64c772, v12
	v_fma_f32 v12, v25, s0, -v31
	v_fmac_f32_e32 v31, 0x3eae86e6, v27
	s_mov_b32 s0, 0xbeae86e6
	v_fma_f32 v25, v27, s0, -v33
	v_add_f32_e32 v3, v3, v34
	v_add_f32_e32 v26, v26, v34
	v_fmac_f32_e32 v31, 0x3ee1c552, v11
	v_fmac_f32_e32 v12, 0x3ee1c552, v11
	v_add_f32_e32 v27, v29, v34
	v_fmac_f32_e32 v25, 0x3ee1c552, v11
	v_sub_f32_e32 v11, v3, v31
	v_add_f32_e32 v30, v12, v26
	v_sub_f32_e32 v12, v26, v12
	v_add_u32_e32 v26, 0x1600, v37
	v_sub_f32_e32 v29, v27, v25
	ds_write2_b32 v26, v28, v11 offset0:104 offset1:158
	v_add_u32_e32 v11, 0x1800, v37
	v_add_f32_e32 v25, v25, v27
	v_add_f32_e32 v3, v31, v3
	ds_write2_b32 v11, v29, v30 offset0:84 offset1:138
	ds_write2_b32 v11, v12, v25 offset0:192 offset1:246
	ds_write_b32 v37, v3 offset:7344
.LBB0_27:
	s_or_b64 exec, exec, s[4:5]
	s_waitcnt lgkmcnt(0)
	s_barrier
	s_and_saveexec_b64 s[0:1], vcc
	s_cbranch_execz .LBB0_29
; %bb.28:
	v_mov_b32_e32 v3, 0
	v_lshlrev_b64 v[11:12], 3, v[2:3]
	v_mov_b32_e32 v53, s9
	v_add_co_u32_e32 v11, vcc, s8, v11
	v_addc_co_u32_e32 v12, vcc, v53, v12, vcc
	global_load_dwordx4 v[25:28], v[11:12], off offset:3008
	global_load_dwordx4 v[33:36], v[11:12], off offset:3024
	v_add_u32_e32 v2, 0x600, v43
	v_add_u32_e32 v11, 0xc00, v43
	;; [unrolled: 1-line block ×4, first 2 shown]
	ds_read_b32 v54, v45
	ds_read_b32 v52, v32
	;; [unrolled: 1-line block ×3, first 2 shown]
	ds_read2_b32 v[44:45], v2 offset0:120 offset1:246
	ds_read2_b32 v[46:47], v11 offset0:114 offset1:240
	;; [unrolled: 1-line block ×4, first 2 shown]
	v_mov_b32_e32 v6, v3
	v_lshlrev_b64 v[5:6], 3, v[5:6]
	s_movk_i32 s4, 0x5e8
	v_add_co_u32_e32 v5, vcc, s8, v5
	v_addc_co_u32_e32 v6, vcc, v53, v6, vcc
	global_load_dwordx4 v[29:32], v[5:6], off offset:3024
	global_load_dwordx4 v[37:40], v[5:6], off offset:3008
	s_waitcnt vmcnt(3) lgkmcnt(3)
	v_mul_f32_e32 v2, v25, v45
	s_waitcnt lgkmcnt(2)
	v_mul_f32_e32 v5, v27, v47
	s_waitcnt vmcnt(2) lgkmcnt(1)
	v_mul_f32_e32 v56, v35, v49
	v_mul_f32_e32 v6, v28, v47
	;; [unrolled: 1-line block ×4, first 2 shown]
	v_fmac_f32_e32 v2, v14, v26
	v_fmac_f32_e32 v5, v18, v28
	;; [unrolled: 1-line block ×3, first 2 shown]
	s_waitcnt lgkmcnt(0)
	v_mul_f32_e32 v57, v33, v50
	v_mul_f32_e32 v11, v34, v50
	v_fma_f32 v18, v18, v27, -v6
	v_fma_f32 v16, v16, v35, -v45
	v_sub_f32_e32 v6, v2, v5
	v_sub_f32_e32 v45, v2, v56
	;; [unrolled: 1-line block ×3, first 2 shown]
	v_add_f32_e32 v49, v2, v56
	v_add_f32_e32 v2, v2, v52
	v_fmac_f32_e32 v57, v7, v34
	v_fma_f32 v26, v7, v33, -v11
	v_fma_f32 v14, v14, v25, -v12
	v_add_f32_e32 v2, v5, v2
	v_add_f32_e32 v11, v5, v57
	v_sub_f32_e32 v12, v14, v18
	v_sub_f32_e32 v28, v16, v26
	;; [unrolled: 1-line block ×4, first 2 shown]
	v_add_f32_e32 v2, v57, v2
	v_add_f32_e32 v59, v14, v16
	v_fma_f32 v34, -0.5, v11, v52
	v_add_f32_e32 v28, v12, v28
	v_fma_f32 v12, -0.5, v49, v52
	v_add_f32_e32 v52, v50, v58
	v_add_f32_e32 v50, v56, v2
	;; [unrolled: 1-line block ×3, first 2 shown]
	v_sub_f32_e32 v36, v57, v56
	v_fma_f32 v11, -0.5, v59, v24
	v_add_f32_e32 v2, v2, v18
	v_sub_f32_e32 v47, v5, v57
	v_add_f32_e32 v61, v35, v36
	v_mov_b32_e32 v35, v11
	v_add_f32_e32 v2, v2, v26
	v_mov_b32_e32 v5, v3
	v_fmac_f32_e32 v35, 0xbf737871, v47
	v_add_f32_e32 v49, v16, v2
	v_fmac_f32_e32 v11, 0x3f737871, v47
	v_lshlrev_b64 v[2:3], 3, v[4:5]
	v_sub_f32_e32 v7, v56, v57
	v_fmac_f32_e32 v35, 0x3f167918, v45
	v_fmac_f32_e32 v11, 0xbf167918, v45
	v_sub_f32_e32 v25, v18, v26
	v_sub_f32_e32 v27, v14, v16
	v_add_f32_e32 v60, v6, v7
	v_mov_b32_e32 v7, v34
	v_mov_b32_e32 v36, v12
	v_fmac_f32_e32 v35, 0x3e9e377a, v52
	v_fmac_f32_e32 v11, 0x3e9e377a, v52
	v_add_co_u32_e32 v52, vcc, s8, v2
	v_add_f32_e32 v33, v18, v26
	v_fmac_f32_e32 v34, 0xbf737871, v27
	v_fmac_f32_e32 v7, 0x3f737871, v27
	;; [unrolled: 1-line block ×4, first 2 shown]
	v_addc_co_u32_e32 v53, vcc, v53, v3, vcc
	v_fma_f32 v33, -0.5, v33, v24
	v_fmac_f32_e32 v34, 0xbf167918, v25
	v_fmac_f32_e32 v7, 0x3f167918, v25
	;; [unrolled: 1-line block ×4, first 2 shown]
	global_load_dwordx4 v[2:5], v[52:53], off offset:3024
	global_load_dwordx4 v[24:27], v[52:53], off offset:3008
	v_add_u32_e32 v14, 0x1000, v43
	ds_read2_b32 v[52:53], v14 offset0:110 offset1:236
	v_mov_b32_e32 v6, v33
	v_fmac_f32_e32 v33, 0x3f737871, v45
	v_fmac_f32_e32 v6, 0xbf737871, v45
	;; [unrolled: 1-line block ×4, first 2 shown]
	s_waitcnt vmcnt(2)
	v_mul_f32_e32 v45, v37, v44
	v_mul_f32_e32 v47, v39, v46
	;; [unrolled: 1-line block ×3, first 2 shown]
	s_waitcnt lgkmcnt(0)
	v_mul_f32_e32 v57, v29, v53
	v_fmac_f32_e32 v45, v13, v38
	v_fmac_f32_e32 v47, v17, v40
	;; [unrolled: 1-line block ×4, first 2 shown]
	v_sub_f32_e32 v14, v45, v47
	v_sub_f32_e32 v16, v56, v57
	v_add_f32_e32 v58, v14, v16
	v_mul_f32_e32 v14, v40, v46
	v_fma_f32 v39, v17, v39, -v14
	v_mul_f32_e32 v14, v30, v53
	v_fma_f32 v10, v10, v29, -v14
	;; [unrolled: 2-line block ×4, first 2 shown]
	v_add_f32_e32 v13, v47, v57
	v_sub_f32_e32 v17, v47, v45
	v_sub_f32_e32 v18, v57, v56
	v_fma_f32 v14, -0.5, v13, v55
	v_add_f32_e32 v46, v17, v18
	v_add_f32_e32 v17, v45, v56
	v_sub_f32_e32 v32, v37, v31
	v_mov_b32_e32 v16, v14
	v_fma_f32 v18, -0.5, v17, v55
	v_fmac_f32_e32 v33, 0x3e9e377a, v28
	v_fmac_f32_e32 v6, 0x3e9e377a, v28
	v_sub_f32_e32 v30, v39, v10
	ds_read_b32 v38, v23
	v_fmac_f32_e32 v16, 0x3f737871, v32
	v_sub_f32_e32 v13, v37, v39
	v_sub_f32_e32 v15, v31, v10
	v_mov_b32_e32 v29, v18
	v_sub_f32_e32 v17, v39, v37
	v_sub_f32_e32 v28, v10, v31
	v_fmac_f32_e32 v14, 0xbf737871, v32
	v_fmac_f32_e32 v16, 0x3f167918, v30
	;; [unrolled: 1-line block ×3, first 2 shown]
	v_add_f32_e32 v48, v17, v28
	v_add_f32_e32 v17, v37, v31
	v_fmac_f32_e32 v18, 0x3f737871, v30
	v_fmac_f32_e32 v14, 0xbf167918, v30
	ds_read_b32 v30, v43
	v_add_f32_e32 v23, v13, v15
	v_add_f32_e32 v13, v39, v10
	v_fma_f32 v13, -0.5, v13, v22
	v_fma_f32 v17, -0.5, v17, v22
	v_add_f32_e32 v22, v22, v37
	v_add_f32_e32 v22, v22, v39
	v_add_f32_e32 v10, v22, v10
	v_add_f32_e32 v22, v31, v10
	v_sub_f32_e32 v44, v47, v57
	v_mov_b32_e32 v28, v17
	v_sub_f32_e32 v40, v45, v56
	v_mov_b32_e32 v15, v13
	v_fmac_f32_e32 v28, 0x3f737871, v44
	v_fmac_f32_e32 v17, 0xbf737871, v44
	;; [unrolled: 1-line block ×13, first 2 shown]
	s_waitcnt vmcnt(1)
	v_mul_f32_e32 v39, v2, v52
	s_waitcnt vmcnt(0) lgkmcnt(1)
	v_mul_f32_e32 v31, v26, v38
	v_mul_f32_e32 v10, v21, v25
	v_fmac_f32_e32 v31, v20, v27
	v_mul_f32_e32 v37, v4, v51
	v_fmac_f32_e32 v39, v9, v3
	v_mul_f32_e32 v27, v27, v38
	v_mul_f32_e32 v3, v3, v52
	v_fmac_f32_e32 v10, v54, v24
	v_fmac_f32_e32 v37, v8, v5
	v_fma_f32 v26, v20, v26, -v27
	v_fma_f32 v27, v9, v2, -v3
	v_mul_f32_e32 v2, v54, v25
	v_sub_f32_e32 v32, v10, v31
	v_sub_f32_e32 v40, v37, v39
	v_fma_f32 v24, v21, v24, -v2
	v_mul_f32_e32 v2, v5, v51
	v_add_f32_e32 v32, v32, v40
	v_fma_f32 v40, v8, v4, -v2
	v_add_f32_e32 v2, v31, v39
	s_waitcnt lgkmcnt(0)
	v_fma_f32 v3, -0.5, v2, v30
	v_sub_f32_e32 v2, v24, v26
	v_sub_f32_e32 v4, v40, v27
	v_add_f32_e32 v25, v2, v4
	v_add_f32_e32 v2, v26, v27
	v_fma_f32 v2, -0.5, v2, v19
	v_sub_f32_e32 v8, v31, v10
	v_sub_f32_e32 v9, v39, v37
	;; [unrolled: 1-line block ×3, first 2 shown]
	v_mov_b32_e32 v4, v2
	v_add_f32_e32 v46, v8, v9
	v_add_f32_e32 v8, v10, v37
	;; [unrolled: 1-line block ×3, first 2 shown]
	v_fmac_f32_e32 v13, 0x3e9e377a, v23
	v_add_f32_e32 v23, v45, v55
	v_fmac_f32_e32 v4, 0xbf737871, v44
	v_sub_f32_e32 v45, v31, v39
	v_fmac_f32_e32 v2, 0x3f737871, v44
	v_add_f32_e32 v10, v31, v10
	v_fmac_f32_e32 v4, 0xbf167918, v45
	v_fmac_f32_e32 v2, 0x3f167918, v45
	v_add_f32_e32 v10, v39, v10
	v_fmac_f32_e32 v4, 0x3e9e377a, v25
	v_fmac_f32_e32 v2, 0x3e9e377a, v25
	v_add_f32_e32 v25, v37, v10
	v_add_f32_e32 v10, v19, v24
	;; [unrolled: 1-line block ×3, first 2 shown]
	v_sub_f32_e32 v38, v26, v27
	v_fma_f32 v9, -0.5, v8, v30
	v_sub_f32_e32 v8, v26, v24
	v_sub_f32_e32 v20, v27, v40
	v_add_f32_e32 v10, v10, v27
	v_mad_u64_u32 v[26:27], s[0:1], s2, v41, 0
	v_add_f32_e32 v23, v47, v23
	v_sub_f32_e32 v43, v24, v40
	v_add_f32_e32 v47, v8, v20
	v_add_f32_e32 v8, v24, v40
	;; [unrolled: 1-line block ×3, first 2 shown]
	v_mov_b32_e32 v10, v27
	v_mad_u64_u32 v[30:31], s[0:1], s3, v41, v[10:11]
	v_fma_f32 v8, -0.5, v8, v19
	v_mov_b32_e32 v10, s13
	v_mov_b32_e32 v27, v30
	v_add_co_u32_e32 v19, vcc, s12, v0
	v_add_u32_e32 v30, 0x17a, v41
	v_addc_co_u32_e32 v37, vcc, v10, v1, vcc
	v_lshlrev_b64 v[0:1], 3, v[26:27]
	v_mad_u64_u32 v[26:27], s[0:1], s2, v30, 0
	v_mov_b32_e32 v5, v3
	v_fmac_f32_e32 v5, 0x3f737871, v43
	v_mov_b32_e32 v10, v27
	v_mad_u64_u32 v[30:31], s[0:1], s3, v30, v[10:11]
	v_mov_b32_e32 v21, v9
	v_fmac_f32_e32 v3, 0xbf737871, v43
	v_fmac_f32_e32 v5, 0x3f167918, v38
	;; [unrolled: 1-line block ×5, first 2 shown]
	v_add_u32_e32 v38, 0x2f4, v41
	v_fmac_f32_e32 v5, 0x3e9e377a, v32
	v_fmac_f32_e32 v3, 0x3e9e377a, v32
	v_add_co_u32_e32 v0, vcc, v19, v0
	v_mad_u64_u32 v[31:32], s[0:1], s2, v38, 0
	v_addc_co_u32_e32 v1, vcc, v37, v1, vcc
	v_mov_b32_e32 v27, v30
	global_store_dwordx2 v[0:1], v[24:25], off
	v_lshlrev_b64 v[0:1], 3, v[26:27]
	v_mov_b32_e32 v10, v32
	v_add_co_u32_e32 v0, vcc, v19, v0
	v_mad_u64_u32 v[24:25], s[0:1], s3, v38, v[10:11]
	v_addc_co_u32_e32 v1, vcc, v37, v1, vcc
	v_add_u32_e32 v10, 0x46e, v41
	global_store_dwordx2 v[0:1], v[2:3], off
	v_mad_u64_u32 v[2:3], s[0:1], s2, v10, 0
	v_mov_b32_e32 v32, v24
	v_mov_b32_e32 v20, v8
	v_mad_u64_u32 v[24:25], s[0:1], s3, v10, v[3:4]
	v_add_u32_e32 v10, 0x5e8, v41
	v_lshlrev_b64 v[0:1], 3, v[31:32]
	v_mad_u64_u32 v[25:26], s[0:1], s2, v10, 0
	v_fmac_f32_e32 v20, 0xbf737871, v45
	v_fmac_f32_e32 v21, 0xbf167918, v43
	v_fmac_f32_e32 v20, 0x3f167918, v44
	v_add_co_u32_e32 v0, vcc, v19, v0
	v_fmac_f32_e32 v21, 0x3e9e377a, v46
	v_fmac_f32_e32 v20, 0x3e9e377a, v47
	v_addc_co_u32_e32 v1, vcc, v37, v1, vcc
	v_mov_b32_e32 v3, v24
	global_store_dwordx2 v[0:1], v[20:21], off
	v_lshlrev_b64 v[0:1], 3, v[2:3]
	v_mov_b32_e32 v2, v26
	v_fmac_f32_e32 v8, 0x3f737871, v45
	v_mad_u64_u32 v[2:3], s[0:1], s3, v10, v[2:3]
	v_fmac_f32_e32 v9, 0x3f167918, v43
	v_fmac_f32_e32 v8, 0xbf167918, v44
	v_add_co_u32_e32 v0, vcc, v19, v0
	v_fmac_f32_e32 v9, 0x3e9e377a, v46
	v_fmac_f32_e32 v8, 0x3e9e377a, v47
	v_addc_co_u32_e32 v1, vcc, v37, v1, vcc
	global_store_dwordx2 v[0:1], v[8:9], off
	v_add_u32_e32 v8, 0x7e, v41
	v_mov_b32_e32 v26, v2
	v_mad_u64_u32 v[2:3], s[0:1], s2, v8, 0
	v_add_u32_e32 v20, 0x1f8, v41
	v_lshlrev_b64 v[0:1], 3, v[25:26]
	v_mad_u64_u32 v[8:9], s[0:1], s3, v8, v[3:4]
	v_mad_u64_u32 v[9:10], s[0:1], s2, v20, 0
	v_add_co_u32_e32 v0, vcc, v19, v0
	v_addc_co_u32_e32 v1, vcc, v37, v1, vcc
	v_mov_b32_e32 v3, v8
	global_store_dwordx2 v[0:1], v[4:5], off
	v_lshlrev_b64 v[0:1], 3, v[2:3]
	v_mov_b32_e32 v2, v10
	v_mad_u64_u32 v[2:3], s[0:1], s3, v20, v[2:3]
	v_add_f32_e32 v23, v57, v23
	v_add_co_u32_e32 v0, vcc, v19, v0
	v_mov_b32_e32 v10, v2
	v_mad_u64_u32 v[2:3], s[0:1], s2, v42, 0
	v_add_f32_e32 v23, v56, v23
	v_addc_co_u32_e32 v1, vcc, v37, v1, vcc
	v_mad_u64_u32 v[3:4], s[0:1], s3, v42, v[3:4]
	v_add_u32_e32 v8, 0x4ec, v41
	global_store_dwordx2 v[0:1], v[22:23], off
	v_lshlrev_b64 v[0:1], 3, v[9:10]
	v_mad_u64_u32 v[4:5], s[0:1], s2, v8, 0
	v_add_co_u32_e32 v0, vcc, v19, v0
	v_fmac_f32_e32 v14, 0x3e9e377a, v58
	v_addc_co_u32_e32 v1, vcc, v37, v1, vcc
	global_store_dwordx2 v[0:1], v[13:14], off
	v_lshlrev_b64 v[0:1], 3, v[2:3]
	v_mov_b32_e32 v2, v5
	v_mad_u64_u32 v[2:3], s[0:1], s3, v8, v[2:3]
	v_add_co_u32_e32 v0, vcc, v19, v0
	v_fmac_f32_e32 v17, 0x3e9e377a, v48
	v_addc_co_u32_e32 v1, vcc, v37, v1, vcc
	v_mov_b32_e32 v5, v2
	global_store_dwordx2 v[0:1], v[17:18], off
	v_lshlrev_b64 v[0:1], 3, v[4:5]
	v_add_u32_e32 v4, 0x666, v41
	v_mad_u64_u32 v[2:3], s[0:1], s2, v4, 0
	v_add_u32_e32 v5, 0xfc, v41
	v_lshrrev_b32_e32 v8, 1, v5
	s_mov_b32 s0, 0xad602b59
	v_mul_hi_u32 v8, v8, s0
	v_mad_u64_u32 v[3:4], s[0:1], s3, v4, v[3:4]
	v_add_co_u32_e32 v0, vcc, v19, v0
	v_lshrrev_b32_e32 v4, 7, v8
	v_mad_u32_u24 v8, v4, s4, v5
	v_mad_u64_u32 v[4:5], s[0:1], s2, v8, 0
	v_fmac_f32_e32 v28, 0x3e9e377a, v48
	v_addc_co_u32_e32 v1, vcc, v37, v1, vcc
	global_store_dwordx2 v[0:1], v[28:29], off
	v_lshlrev_b64 v[0:1], 3, v[2:3]
	v_mov_b32_e32 v2, v5
	v_mad_u64_u32 v[2:3], s[0:1], s3, v8, v[2:3]
	v_add_co_u32_e32 v0, vcc, v19, v0
	v_fmac_f32_e32 v16, 0x3e9e377a, v58
	v_addc_co_u32_e32 v1, vcc, v37, v1, vcc
	v_mov_b32_e32 v5, v2
	global_store_dwordx2 v[0:1], v[15:16], off
	v_lshlrev_b64 v[0:1], 3, v[4:5]
	v_add_u32_e32 v4, 0x17a, v8
	v_mad_u64_u32 v[2:3], s[0:1], s2, v4, 0
	v_add_u32_e32 v9, 0x2f4, v8
	v_add_co_u32_e32 v0, vcc, v19, v0
	v_mad_u64_u32 v[3:4], s[0:1], s3, v4, v[3:4]
	v_mad_u64_u32 v[4:5], s[0:1], s2, v9, 0
	v_addc_co_u32_e32 v1, vcc, v37, v1, vcc
	global_store_dwordx2 v[0:1], v[49:50], off
	v_lshlrev_b64 v[0:1], 3, v[2:3]
	v_mov_b32_e32 v2, v5
	v_mad_u64_u32 v[2:3], s[0:1], s3, v9, v[2:3]
	v_add_co_u32_e32 v0, vcc, v19, v0
	v_fmac_f32_e32 v34, 0x3e9e377a, v60
	v_addc_co_u32_e32 v1, vcc, v37, v1, vcc
	v_mov_b32_e32 v5, v2
	global_store_dwordx2 v[0:1], v[33:34], off
	v_lshlrev_b64 v[0:1], 3, v[4:5]
	v_add_u32_e32 v4, 0x46e, v8
	v_mad_u64_u32 v[2:3], s[0:1], s2, v4, 0
	v_add_u32_e32 v8, 0x5e8, v8
	v_add_co_u32_e32 v0, vcc, v19, v0
	v_mad_u64_u32 v[3:4], s[0:1], s3, v4, v[3:4]
	v_mad_u64_u32 v[4:5], s[0:1], s2, v8, 0
	v_fmac_f32_e32 v36, 0x3e9e377a, v61
	v_addc_co_u32_e32 v1, vcc, v37, v1, vcc
	global_store_dwordx2 v[0:1], v[35:36], off
	v_lshlrev_b64 v[0:1], 3, v[2:3]
	v_mov_b32_e32 v2, v5
	v_mad_u64_u32 v[2:3], s[0:1], s3, v8, v[2:3]
	v_add_co_u32_e32 v0, vcc, v19, v0
	v_fmac_f32_e32 v12, 0x3e9e377a, v61
	v_addc_co_u32_e32 v1, vcc, v37, v1, vcc
	v_mov_b32_e32 v5, v2
	global_store_dwordx2 v[0:1], v[11:12], off
	v_lshlrev_b64 v[0:1], 3, v[4:5]
	v_fmac_f32_e32 v7, 0x3e9e377a, v60
	v_add_co_u32_e32 v0, vcc, v19, v0
	v_addc_co_u32_e32 v1, vcc, v37, v1, vcc
	global_store_dwordx2 v[0:1], v[6:7], off
.LBB0_29:
	s_endpgm
	.section	.rodata,"a",@progbits
	.p2align	6, 0x0
	.amdhsa_kernel fft_rtc_fwd_len1890_factors_2_3_3_3_7_5_wgs_126_tpt_126_halfLds_sp_ip_CI_sbrr_dirReg
		.amdhsa_group_segment_fixed_size 0
		.amdhsa_private_segment_fixed_size 0
		.amdhsa_kernarg_size 88
		.amdhsa_user_sgpr_count 6
		.amdhsa_user_sgpr_private_segment_buffer 1
		.amdhsa_user_sgpr_dispatch_ptr 0
		.amdhsa_user_sgpr_queue_ptr 0
		.amdhsa_user_sgpr_kernarg_segment_ptr 1
		.amdhsa_user_sgpr_dispatch_id 0
		.amdhsa_user_sgpr_flat_scratch_init 0
		.amdhsa_user_sgpr_private_segment_size 0
		.amdhsa_uses_dynamic_stack 0
		.amdhsa_system_sgpr_private_segment_wavefront_offset 0
		.amdhsa_system_sgpr_workgroup_id_x 1
		.amdhsa_system_sgpr_workgroup_id_y 0
		.amdhsa_system_sgpr_workgroup_id_z 0
		.amdhsa_system_sgpr_workgroup_info 0
		.amdhsa_system_vgpr_workitem_id 0
		.amdhsa_next_free_vgpr 86
		.amdhsa_next_free_sgpr 24
		.amdhsa_reserve_vcc 1
		.amdhsa_reserve_flat_scratch 0
		.amdhsa_float_round_mode_32 0
		.amdhsa_float_round_mode_16_64 0
		.amdhsa_float_denorm_mode_32 3
		.amdhsa_float_denorm_mode_16_64 3
		.amdhsa_dx10_clamp 1
		.amdhsa_ieee_mode 1
		.amdhsa_fp16_overflow 0
		.amdhsa_exception_fp_ieee_invalid_op 0
		.amdhsa_exception_fp_denorm_src 0
		.amdhsa_exception_fp_ieee_div_zero 0
		.amdhsa_exception_fp_ieee_overflow 0
		.amdhsa_exception_fp_ieee_underflow 0
		.amdhsa_exception_fp_ieee_inexact 0
		.amdhsa_exception_int_div_zero 0
	.end_amdhsa_kernel
	.text
.Lfunc_end0:
	.size	fft_rtc_fwd_len1890_factors_2_3_3_3_7_5_wgs_126_tpt_126_halfLds_sp_ip_CI_sbrr_dirReg, .Lfunc_end0-fft_rtc_fwd_len1890_factors_2_3_3_3_7_5_wgs_126_tpt_126_halfLds_sp_ip_CI_sbrr_dirReg
                                        ; -- End function
	.section	.AMDGPU.csdata,"",@progbits
; Kernel info:
; codeLenInByte = 11692
; NumSgprs: 28
; NumVgprs: 86
; ScratchSize: 0
; MemoryBound: 0
; FloatMode: 240
; IeeeMode: 1
; LDSByteSize: 0 bytes/workgroup (compile time only)
; SGPRBlocks: 3
; VGPRBlocks: 21
; NumSGPRsForWavesPerEU: 28
; NumVGPRsForWavesPerEU: 86
; Occupancy: 2
; WaveLimiterHint : 1
; COMPUTE_PGM_RSRC2:SCRATCH_EN: 0
; COMPUTE_PGM_RSRC2:USER_SGPR: 6
; COMPUTE_PGM_RSRC2:TRAP_HANDLER: 0
; COMPUTE_PGM_RSRC2:TGID_X_EN: 1
; COMPUTE_PGM_RSRC2:TGID_Y_EN: 0
; COMPUTE_PGM_RSRC2:TGID_Z_EN: 0
; COMPUTE_PGM_RSRC2:TIDIG_COMP_CNT: 0
	.type	__hip_cuid_77423958c184cf19,@object ; @__hip_cuid_77423958c184cf19
	.section	.bss,"aw",@nobits
	.globl	__hip_cuid_77423958c184cf19
__hip_cuid_77423958c184cf19:
	.byte	0                               ; 0x0
	.size	__hip_cuid_77423958c184cf19, 1

	.ident	"AMD clang version 19.0.0git (https://github.com/RadeonOpenCompute/llvm-project roc-6.4.0 25133 c7fe45cf4b819c5991fe208aaa96edf142730f1d)"
	.section	".note.GNU-stack","",@progbits
	.addrsig
	.addrsig_sym __hip_cuid_77423958c184cf19
	.amdgpu_metadata
---
amdhsa.kernels:
  - .args:
      - .actual_access:  read_only
        .address_space:  global
        .offset:         0
        .size:           8
        .value_kind:     global_buffer
      - .offset:         8
        .size:           8
        .value_kind:     by_value
      - .actual_access:  read_only
        .address_space:  global
        .offset:         16
        .size:           8
        .value_kind:     global_buffer
      - .actual_access:  read_only
        .address_space:  global
        .offset:         24
        .size:           8
        .value_kind:     global_buffer
      - .offset:         32
        .size:           8
        .value_kind:     by_value
      - .actual_access:  read_only
        .address_space:  global
        .offset:         40
        .size:           8
        .value_kind:     global_buffer
      - .actual_access:  read_only
        .address_space:  global
        .offset:         48
        .size:           8
        .value_kind:     global_buffer
      - .offset:         56
        .size:           4
        .value_kind:     by_value
      - .actual_access:  read_only
        .address_space:  global
        .offset:         64
        .size:           8
        .value_kind:     global_buffer
      - .actual_access:  read_only
        .address_space:  global
        .offset:         72
        .size:           8
        .value_kind:     global_buffer
      - .address_space:  global
        .offset:         80
        .size:           8
        .value_kind:     global_buffer
    .group_segment_fixed_size: 0
    .kernarg_segment_align: 8
    .kernarg_segment_size: 88
    .language:       OpenCL C
    .language_version:
      - 2
      - 0
    .max_flat_workgroup_size: 126
    .name:           fft_rtc_fwd_len1890_factors_2_3_3_3_7_5_wgs_126_tpt_126_halfLds_sp_ip_CI_sbrr_dirReg
    .private_segment_fixed_size: 0
    .sgpr_count:     28
    .sgpr_spill_count: 0
    .symbol:         fft_rtc_fwd_len1890_factors_2_3_3_3_7_5_wgs_126_tpt_126_halfLds_sp_ip_CI_sbrr_dirReg.kd
    .uniform_work_group_size: 1
    .uses_dynamic_stack: false
    .vgpr_count:     86
    .vgpr_spill_count: 0
    .wavefront_size: 64
amdhsa.target:   amdgcn-amd-amdhsa--gfx906
amdhsa.version:
  - 1
  - 2
...

	.end_amdgpu_metadata
